;; amdgpu-corpus repo=ROCm/rocFFT kind=compiled arch=gfx1030 opt=O3
	.text
	.amdgcn_target "amdgcn-amd-amdhsa--gfx1030"
	.amdhsa_code_object_version 6
	.protected	bluestein_single_back_len68_dim1_dp_op_CI_CI ; -- Begin function bluestein_single_back_len68_dim1_dp_op_CI_CI
	.globl	bluestein_single_back_len68_dim1_dp_op_CI_CI
	.p2align	8
	.type	bluestein_single_back_len68_dim1_dp_op_CI_CI,@function
bluestein_single_back_len68_dim1_dp_op_CI_CI: ; @bluestein_single_back_len68_dim1_dp_op_CI_CI
; %bb.0:
	s_mov_b64 s[62:63], s[2:3]
	s_mov_b64 s[60:61], s[0:1]
	s_load_dwordx4 s[0:3], s[4:5], 0x28
	v_mul_u32_u24_e32 v1, 0xf10, v0
	s_add_u32 s60, s60, s7
	s_addc_u32 s61, s61, 0
	v_lshrrev_b32_e32 v1, 16, v1
	v_mad_u64_u32 v[120:121], null, s6, 15, v[1:2]
	v_mov_b32_e32 v121, 0
	s_waitcnt lgkmcnt(0)
	v_cmp_gt_u64_e32 vcc_lo, s[0:1], v[120:121]
	s_and_saveexec_b32 s0, vcc_lo
	s_cbranch_execz .LBB0_15
; %bb.1:
	v_mul_hi_u32 v2, 0x88888889, v120
	v_mul_lo_u16 v1, v1, 17
	s_clause 0x1
	s_load_dwordx2 s[6:7], s[4:5], 0x0
	s_load_dwordx2 s[12:13], s[4:5], 0x38
	v_sub_nc_u16 v0, v0, v1
	v_lshrrev_b32_e32 v2, 3, v2
	v_and_b32_e32 v255, 0xffff, v0
	v_cmp_gt_u16_e32 vcc_lo, 4, v0
	v_mul_lo_u32 v1, v2, 15
	v_lshlrev_b32_e32 v169, 4, v255
	v_sub_nc_u32_e32 v0, v120, v1
	v_mul_u32_u24_e32 v74, 0x44, v0
	v_or_b32_e32 v0, v74, v255
	v_lshlrev_b32_e32 v0, 4, v0
	buffer_store_dword v0, off, s[60:63], 0 ; 4-byte Folded Spill
	s_mov_b32 s1, exec_lo
	s_and_b32 s0, s1, vcc_lo
	buffer_store_dword v74, off, s[60:63], 0 offset:4 ; 4-byte Folded Spill
	s_mov_b32 exec_lo, s0
	s_cbranch_execz .LBB0_3
; %bb.2:
	s_load_dwordx2 s[8:9], s[4:5], 0x18
	v_or_b32_e32 v35, 4, v255
	v_or_b32_e32 v39, 20, v255
	v_or_b32_e32 v36, 8, v255
	v_or_b32_e32 v37, 12, v255
	v_or_b32_e32 v40, 24, v255
	v_or_b32_e32 v38, 16, v255
	v_or_b32_e32 v46, 28, v255
	v_or_b32_e32 v55, 32, v255
	v_or_b32_e32 v54, 36, v255
	v_or_b32_e32 v72, 40, v255
	v_or_b32_e32 v74, 44, v255
	v_or_b32_e32 v87, 48, v255
	v_or_b32_e32 v89, 52, v255
	v_or_b32_e32 v104, 56, v255
	v_or_b32_e32 v108, 60, v255
	v_or_b32_e32 v110, 64, v255
	s_waitcnt lgkmcnt(0)
	s_load_dwordx4 s[8:11], s[8:9], 0x0
	s_clause 0x3
	global_load_dwordx4 v[0:3], v169, s[6:7]
	global_load_dwordx4 v[4:7], v169, s[6:7] offset:64
	global_load_dwordx4 v[8:11], v169, s[6:7] offset:128
	;; [unrolled: 1-line block ×3, first 2 shown]
	s_waitcnt lgkmcnt(0)
	v_mad_u64_u32 v[16:17], null, s10, v120, 0
	v_mad_u64_u32 v[18:19], null, s8, v255, 0
	;; [unrolled: 1-line block ×8, first 2 shown]
	v_mov_b32_e32 v28, v33
	v_mad_u64_u32 v[33:34], null, s9, v255, v[19:20]
	v_mad_u64_u32 v[26:27], null, s8, v38, 0
	;; [unrolled: 1-line block ×3, first 2 shown]
	v_mov_b32_e32 v17, v30
	v_mad_u64_u32 v[35:36], null, s9, v36, v[23:24]
	v_mov_b32_e32 v29, v43
	v_mov_b32_e32 v19, v33
	v_lshlrev_b64 v[16:17], 4, v[16:17]
	v_mad_u64_u32 v[36:37], null, s9, v37, v[25:26]
	v_mad_u64_u32 v[37:38], null, s9, v38, v[27:28]
	v_mov_b32_e32 v21, v34
	v_mad_u64_u32 v[38:39], null, s9, v39, v[28:29]
	v_mad_u64_u32 v[39:40], null, s9, v40, v[29:30]
	v_lshlrev_b64 v[18:19], 4, v[18:19]
	v_mov_b32_e32 v23, v35
	v_add_co_u32 v40, s0, s2, v16
	v_lshlrev_b64 v[20:21], 4, v[20:21]
	v_add_co_ci_u32_e64 v41, s0, s3, v17, s0
	v_mov_b32_e32 v25, v36
	v_lshlrev_b64 v[22:23], 4, v[22:23]
	v_add_co_u32 v18, s0, v40, v18
	v_mad_u64_u32 v[50:51], null, s8, v46, 0
	v_mov_b32_e32 v27, v37
	v_add_co_ci_u32_e64 v19, s0, v41, v19, s0
	v_lshlrev_b64 v[16:17], 4, v[24:25]
	v_add_co_u32 v20, s0, v40, v20
	v_mov_b32_e32 v33, v38
	v_add_co_ci_u32_e64 v21, s0, v41, v21, s0
	v_add_co_u32 v22, s0, v40, v22
	v_lshlrev_b64 v[34:35], 4, v[26:27]
	v_mov_b32_e32 v43, v39
	v_add_co_ci_u32_e64 v23, s0, v41, v23, s0
	v_add_co_u32 v16, s0, v40, v16
	v_lshlrev_b64 v[32:33], 4, v[32:33]
	;; [unrolled: 4-line block ×3, first 2 shown]
	v_mad_u64_u32 v[66:67], null, s8, v55, 0
	v_mad_u64_u32 v[68:69], null, s8, v54, 0
	v_add_co_ci_u32_e64 v45, s0, v41, v35, s0
	v_mad_u64_u32 v[46:47], null, s9, v46, v[36:37]
	v_add_co_u32 v47, s0, v40, v32
	v_add_co_ci_u32_e64 v48, s0, v41, v33, s0
	v_add_co_u32 v58, s0, v40, v52
	v_add_co_ci_u32_e64 v59, s0, v41, v53, s0
	v_mov_b32_e32 v52, v67
	v_mov_b32_e32 v53, v69
	v_mad_u64_u32 v[82:83], null, s8, v72, 0
	v_mad_u64_u32 v[84:85], null, s8, v74, 0
	v_mad_u64_u32 v[60:61], null, s9, v55, v[52:53]
	v_mad_u64_u32 v[64:65], null, s9, v54, v[53:54]
	v_mov_b32_e32 v51, v46
	v_mov_b32_e32 v70, v83
	;; [unrolled: 1-line block ×3, first 2 shown]
	s_clause 0x3
	global_load_dwordx4 v[28:31], v[18:19], off
	global_load_dwordx4 v[24:27], v[20:21], off
	;; [unrolled: 1-line block ×4, first 2 shown]
	v_mov_b32_e32 v67, v60
	v_lshlrev_b64 v[50:51], 4, v[50:51]
	v_mov_b32_e32 v69, v64
	v_mad_u64_u32 v[72:73], null, s9, v72, v[70:71]
	v_lshlrev_b64 v[66:67], 4, v[66:67]
	s_clause 0x1
	global_load_dwordx4 v[36:39], v169, s[6:7] offset:256
	global_load_dwordx4 v[32:35], v169, s[6:7] offset:320
	v_add_co_u32 v62, s0, v40, v50
	v_lshlrev_b64 v[68:69], 4, v[68:69]
	v_add_co_ci_u32_e64 v63, s0, v41, v51, s0
	v_add_co_u32 v66, s0, v40, v66
	v_mad_u64_u32 v[70:71], null, s9, v74, v[71:72]
	v_add_co_ci_u32_e64 v67, s0, v41, v67, s0
	v_add_co_u32 v73, s0, v40, v68
	v_add_co_ci_u32_e64 v74, s0, v41, v69, s0
	s_clause 0x1
	global_load_dwordx4 v[42:45], v[44:45], off
	global_load_dwordx4 v[46:49], v[47:48], off
	s_clause 0x1
	global_load_dwordx4 v[50:53], v169, s[6:7] offset:384
	global_load_dwordx4 v[54:57], v169, s[6:7] offset:448
	s_clause 0x1
	global_load_dwordx4 v[58:61], v[58:59], off
	global_load_dwordx4 v[62:65], v[62:63], off
	v_mov_b32_e32 v83, v72
	v_mov_b32_e32 v85, v70
	s_clause 0x1
	global_load_dwordx4 v[66:69], v[66:67], off
	global_load_dwordx4 v[70:73], v[73:74], off
	s_clause 0x1
	global_load_dwordx4 v[74:77], v169, s[6:7] offset:512
	global_load_dwordx4 v[78:81], v169, s[6:7] offset:576
	v_mad_u64_u32 v[98:99], null, s8, v87, 0
	v_lshlrev_b64 v[82:83], 4, v[82:83]
	v_mad_u64_u32 v[100:101], null, s8, v89, 0
	v_lshlrev_b64 v[84:85], 4, v[84:85]
	v_mad_u64_u32 v[106:107], null, s8, v104, 0
	v_mov_b32_e32 v86, v99
	v_add_co_u32 v82, s0, v40, v82
	v_mad_u64_u32 v[114:115], null, s8, v108, 0
	v_add_co_ci_u32_e64 v83, s0, v41, v83, s0
	v_mad_u64_u32 v[90:91], null, s9, v87, v[86:87]
	v_mov_b32_e32 v86, v101
	v_add_co_u32 v87, s0, v40, v84
	v_mov_b32_e32 v103, v115
	v_mad_u64_u32 v[116:117], null, s8, v110, 0
	v_mad_u64_u32 v[101:102], null, s9, v89, v[86:87]
	v_mov_b32_e32 v102, v107
	v_mov_b32_e32 v99, v90
	v_add_co_ci_u32_e64 v88, s0, v41, v85, s0
	s_clause 0x1
	global_load_dwordx4 v[82:85], v[82:83], off
	global_load_dwordx4 v[86:89], v[87:88], off
	v_mad_u64_u32 v[104:105], null, s9, v104, v[102:103]
	v_lshlrev_b64 v[98:99], 4, v[98:99]
	v_lshlrev_b64 v[100:101], 4, v[100:101]
	s_clause 0x1
	global_load_dwordx4 v[90:93], v169, s[6:7] offset:640
	global_load_dwordx4 v[94:97], v169, s[6:7] offset:704
	v_mad_u64_u32 v[102:103], null, s9, v108, v[103:104]
	v_mov_b32_e32 v103, v117
	v_mov_b32_e32 v107, v104
	v_add_co_u32 v98, s0, v40, v98
	v_add_co_ci_u32_e64 v99, s0, v41, v99, s0
	v_mad_u64_u32 v[117:118], null, s9, v110, v[103:104]
	v_mov_b32_e32 v115, v102
	v_lshlrev_b64 v[118:119], 4, v[106:107]
	v_add_co_u32 v108, s0, v40, v100
	v_add_co_ci_u32_e64 v109, s0, v41, v101, s0
	v_lshlrev_b64 v[114:115], 4, v[114:115]
	v_add_co_u32 v118, s0, v40, v118
	v_lshlrev_b64 v[121:122], 4, v[116:117]
	v_add_co_ci_u32_e64 v119, s0, v41, v119, s0
	v_add_co_u32 v125, s0, v40, v114
	v_add_co_ci_u32_e64 v126, s0, v41, v115, s0
	s_clause 0x1
	global_load_dwordx4 v[98:101], v[98:99], off
	global_load_dwordx4 v[102:105], v[108:109], off
	s_clause 0x1
	global_load_dwordx4 v[106:109], v169, s[6:7] offset:768
	global_load_dwordx4 v[110:113], v169, s[6:7] offset:832
	v_add_co_u32 v40, s0, v40, v121
	global_load_dwordx4 v[114:117], v169, s[6:7] offset:896
	v_add_co_ci_u32_e64 v41, s0, v41, v122, s0
	s_clause 0x1
	global_load_dwordx4 v[121:124], v[118:119], off
	global_load_dwordx4 v[125:128], v[125:126], off
	s_clause 0x1
	global_load_dwordx4 v[129:132], v169, s[6:7] offset:960
	global_load_dwordx4 v[133:136], v169, s[6:7] offset:1024
	global_load_dwordx4 v[137:140], v[40:41], off
	s_waitcnt vmcnt(29)
	v_mul_f64 v[40:41], v[30:31], v[2:3]
	v_mul_f64 v[2:3], v[28:29], v[2:3]
	s_waitcnt vmcnt(28)
	v_mul_f64 v[118:119], v[26:27], v[6:7]
	v_mul_f64 v[6:7], v[24:25], v[6:7]
	;; [unrolled: 3-line block ×4, first 2 shown]
	v_fma_f64 v[28:29], v[28:29], v[0:1], v[40:41]
	v_fma_f64 v[30:31], v[30:31], v[0:1], -v[2:3]
	v_fma_f64 v[0:1], v[24:25], v[4:5], v[118:119]
	v_fma_f64 v[2:3], v[26:27], v[4:5], -v[6:7]
	s_waitcnt vmcnt(22)
	v_mul_f64 v[147:148], v[48:49], v[34:35]
	v_mul_f64 v[34:35], v[46:47], v[34:35]
	v_fma_f64 v[4:5], v[20:21], v[8:9], v[141:142]
	v_fma_f64 v[6:7], v[22:23], v[8:9], -v[10:11]
	s_waitcnt vmcnt(15)
	v_mul_f64 v[153:154], v[68:69], v[76:77]
	v_mul_f64 v[76:77], v[66:67], v[76:77]
	v_fma_f64 v[8:9], v[16:17], v[12:13], v[143:144]
	v_fma_f64 v[10:11], v[18:19], v[12:13], -v[14:15]
	v_mul_f64 v[145:146], v[44:45], v[38:39]
	v_mul_f64 v[38:39], v[42:43], v[38:39]
	;; [unrolled: 1-line block ×6, first 2 shown]
	s_waitcnt vmcnt(14)
	v_mul_f64 v[155:156], v[72:73], v[80:81]
	v_mul_f64 v[80:81], v[70:71], v[80:81]
	v_fma_f64 v[16:17], v[46:47], v[32:33], v[147:148]
	v_fma_f64 v[18:19], v[48:49], v[32:33], -v[34:35]
	v_fma_f64 v[32:33], v[66:67], v[74:75], v[153:154]
	v_fma_f64 v[34:35], v[68:69], v[74:75], -v[76:77]
	s_clause 0x1
	buffer_load_dword v74, off, s[60:63], 0 offset:4
	buffer_load_dword v69, off, s[60:63], 0
	v_fma_f64 v[12:13], v[42:43], v[36:37], v[145:146]
	v_fma_f64 v[14:15], v[44:45], v[36:37], -v[38:39]
	v_fma_f64 v[20:21], v[58:59], v[50:51], v[149:150]
	v_fma_f64 v[22:23], v[60:61], v[50:51], -v[52:53]
	;; [unrolled: 2-line block ×4, first 2 shown]
	s_waitcnt vmcnt(13)
	v_mul_f64 v[157:158], v[84:85], v[92:93]
	v_mul_f64 v[92:93], v[82:83], v[92:93]
	s_waitcnt vmcnt(12)
	v_mul_f64 v[159:160], v[88:89], v[96:97]
	v_mul_f64 v[96:97], v[86:87], v[96:97]
	v_fma_f64 v[40:41], v[82:83], v[90:91], v[157:158]
	v_fma_f64 v[42:43], v[84:85], v[90:91], -v[92:93]
	v_fma_f64 v[44:45], v[86:87], v[94:95], v[159:160]
	v_fma_f64 v[46:47], v[88:89], v[94:95], -v[96:97]
	s_waitcnt vmcnt(9)
	v_mul_f64 v[161:162], v[100:101], v[108:109]
	v_mul_f64 v[108:109], v[98:99], v[108:109]
	s_waitcnt vmcnt(8)
	v_mul_f64 v[163:164], v[104:105], v[112:113]
	v_mul_f64 v[112:113], v[102:103], v[112:113]
	;; [unrolled: 3-line block ×5, first 2 shown]
	v_fma_f64 v[48:49], v[98:99], v[106:107], v[161:162]
	v_fma_f64 v[50:51], v[100:101], v[106:107], -v[108:109]
	v_fma_f64 v[52:53], v[102:103], v[110:111], v[163:164]
	v_fma_f64 v[54:55], v[104:105], v[110:111], -v[112:113]
	;; [unrolled: 2-line block ×5, first 2 shown]
	s_waitcnt vmcnt(1)
	v_lshl_add_u32 v68, v74, 4, v169
	s_waitcnt vmcnt(0)
	ds_write_b128 v69, v[28:31]
	ds_write_b128 v68, v[0:3] offset:64
	ds_write_b128 v68, v[4:7] offset:128
	;; [unrolled: 1-line block ×16, first 2 shown]
.LBB0_3:
	s_or_b32 exec_lo, exec_lo, s1
	s_load_dwordx2 s[0:1], s[4:5], 0x20
	v_lshlrev_b32_e32 v172, 4, v74
	s_waitcnt lgkmcnt(0)
	s_waitcnt_vscnt null, 0x0
	s_barrier
	buffer_gl0_inv
                                        ; implicit-def: $vgpr58_vgpr59
                                        ; implicit-def: $vgpr74_vgpr75
                                        ; implicit-def: $vgpr82_vgpr83
                                        ; implicit-def: $vgpr98_vgpr99
                                        ; implicit-def: $vgpr110_vgpr111
                                        ; implicit-def: $vgpr118_vgpr119
                                        ; implicit-def: $vgpr114_vgpr115
                                        ; implicit-def: $vgpr106_vgpr107
                                        ; implicit-def: $vgpr102_vgpr103
                                        ; implicit-def: $vgpr90_vgpr91
                                        ; implicit-def: $vgpr54_vgpr55
                                        ; implicit-def: $vgpr76_vgpr77
                                        ; implicit-def: $vgpr64_vgpr65
                                        ; implicit-def: $vgpr60_vgpr61
                                        ; implicit-def: $vgpr68_vgpr69
                                        ; implicit-def: $vgpr92_vgpr93
                                        ; implicit-def: $vgpr84_vgpr85
	s_and_saveexec_b32 s2, vcc_lo
	s_cbranch_execz .LBB0_5
; %bb.4:
	buffer_load_dword v1, off, s[60:63], 0  ; 4-byte Folded Reload
	v_lshl_add_u32 v0, v255, 4, v172
	s_waitcnt vmcnt(0)
	ds_read_b128 v[52:55], v1
	ds_read_b128 v[84:87], v0 offset:64
	ds_read_b128 v[92:95], v0 offset:128
	;; [unrolled: 1-line block ×16, first 2 shown]
.LBB0_5:
	s_or_b32 exec_lo, exec_lo, s2
	s_waitcnt lgkmcnt(0)
	v_add_f64 v[44:45], v[86:87], -v[70:71]
	s_mov_b32 s2, 0x5d8e7cdc
	s_mov_b32 s3, 0xbfd71e95
	v_add_f64 v[46:47], v[94:95], -v[62:63]
	s_mov_b32 s50, 0x2a9d6da3
	s_mov_b32 s51, 0xbfe58eea
	v_add_f64 v[133:134], v[68:69], v[84:85]
	s_mov_b32 s8, 0x370991
	s_mov_b32 s9, 0x3fedd6d0
	v_add_f64 v[121:122], v[60:61], v[92:93]
	s_mov_b32 s10, 0x75d4884
	s_mov_b32 s11, 0x3fe7a5f6
	v_add_f64 v[48:49], v[84:85], -v[68:69]
	v_add_f64 v[50:51], v[92:93], -v[60:61]
	v_add_f64 v[139:140], v[70:71], v[86:87]
	v_add_f64 v[123:124], v[62:63], v[94:95]
	v_add_f64 v[245:246], v[90:91], -v[66:67]
	s_mov_b32 s48, 0x7c9e640b
	s_mov_b32 s49, 0xbfeca52d
	v_add_f64 v[127:128], v[88:89], v[64:65]
	s_mov_b32 s14, 0x2b2883cd
	s_mov_b32 s15, 0x3fdc86fa
	v_mul_f64 v[0:1], v[44:45], s[2:3]
	v_add_f64 v[247:248], v[88:89], -v[64:65]
	v_add_f64 v[131:132], v[90:91], v[66:67]
	v_mul_f64 v[2:3], v[46:47], s[50:51]
	v_add_f64 v[253:254], v[102:103], -v[78:79]
	s_mov_b32 s16, 0xeb564b22
	s_mov_b32 s17, 0xbfefdd0d
	v_add_f64 v[141:142], v[100:101], v[76:77]
	s_mov_b32 s18, 0x3259b75e
	s_mov_b32 s19, 0x3fb79ee6
	v_add_f64 v[125:126], v[100:101], -v[76:77]
	v_add_f64 v[145:146], v[102:103], v[78:79]
	v_add_f64 v[129:130], v[56:57], v[104:105]
	v_mul_f64 v[4:5], v[50:51], s[50:51]
	s_mov_b32 s20, 0xc61f0d01
	s_mov_b32 s21, 0xbfd183b1
	v_add_f64 v[149:150], v[106:107], -v[58:59]
	s_mov_b32 s22, 0x923c349f
	s_mov_b32 s23, 0xbfeec746
	v_add_f64 v[135:136], v[104:105], -v[56:57]
	v_add_f64 v[153:154], v[58:59], v[106:107]
	v_add_f64 v[137:138], v[72:73], v[112:113]
	buffer_store_dword v0, off, s[60:63], 0 offset:24 ; 4-byte Folded Spill
	buffer_store_dword v1, off, s[60:63], 0 offset:28 ; 4-byte Folded Spill
	;; [unrolled: 1-line block ×4, first 2 shown]
	s_mov_b32 s24, 0x6ed5f1bb
	s_mov_b32 s25, 0xbfe348c8
	v_add_f64 v[157:158], v[114:115], -v[74:75]
	s_mov_b32 s30, 0x6c9a05f6
	s_mov_b32 s31, 0xbfe9895b
	v_add_f64 v[143:144], v[112:113], -v[72:73]
	v_add_f64 v[161:162], v[74:75], v[114:115]
	v_add_f64 v[147:148], v[80:81], v[116:117]
	s_mov_b32 s28, 0x910ea3b9
	s_mov_b32 s29, 0xbfeb34fa
	v_add_f64 v[165:166], v[118:119], -v[82:83]
	s_mov_b32 s26, 0x4363dd80
	s_mov_b32 s27, 0xbfe0d888
	v_add_f64 v[151:152], v[116:117], -v[80:81]
	v_add_f64 v[167:168], v[82:83], v[118:119]
	v_add_f64 v[159:160], v[96:97], v[108:109]
	s_mov_b32 s34, 0x7faef3
	s_mov_b32 s35, 0xbfef7484
	v_add_f64 v[173:174], v[110:111], -v[98:99]
	s_mov_b32 s36, 0xacd6c6b4
	s_mov_b32 s37, 0xbfc7851a
	v_add_f64 v[163:164], v[108:109], -v[96:97]
	v_mul_f64 v[6:7], v[46:47], s[16:17]
	v_mul_f64 v[8:9], v[50:51], s[16:17]
	v_add_f64 v[175:176], v[98:99], v[110:111]
	v_mul_f64 v[241:242], v[44:45], s[50:51]
	v_mul_f64 v[243:244], v[48:49], s[50:51]
	s_mov_b32 s39, 0x3fe0d888
	s_mov_b32 s38, s26
	;; [unrolled: 1-line block ×3, first 2 shown]
	v_mul_f64 v[207:208], v[135:136], s[38:39]
	s_mov_b32 s40, s22
	s_mov_b32 s43, 0x3feca52d
	v_mul_f64 v[209:210], v[143:144], s[40:41]
	s_mov_b32 s42, s48
	s_mov_b32 s45, 0x3fd71e95
	v_mul_f64 v[211:212], v[151:152], s[42:43]
	v_mul_f64 v[203:204], v[159:160], s[8:9]
	s_mov_b32 s44, s2
	v_mul_f64 v[249:250], v[44:45], s[48:49]
	v_mul_f64 v[205:206], v[46:47], s[30:31]
	;; [unrolled: 1-line block ×5, first 2 shown]
	s_mov_b32 s53, 0x3fc7851a
	s_mov_b32 s52, s36
	v_mul_f64 v[219:220], v[253:254], s[40:41]
	v_mul_f64 v[215:216], v[245:246], s[52:53]
	;; [unrolled: 1-line block ×5, first 2 shown]
	s_mov_b32 s47, 0x3fe58eea
	s_mov_b32 s46, s50
	v_mul_f64 v[229:230], v[137:138], s[8:9]
	v_mul_f64 v[235:236], v[135:136], s[46:47]
	;; [unrolled: 1-line block ×9, first 2 shown]
	v_fma_f64 v[10:11], v[121:122], s[24:25], v[205:206]
	v_mul_f64 v[24:25], v[50:51], s[36:37]
	v_fma_f64 v[12:13], v[123:124], s[24:25], -v[217:218]
	v_mul_f64 v[26:27], v[245:246], s[40:41]
	v_mul_f64 v[28:29], v[247:248], s[40:41]
	;; [unrolled: 1-line block ×9, first 2 shown]
	s_mov_b32 s55, 0x3fe9895b
	s_mov_b32 s54, s30
	v_mul_f64 v[170:171], v[159:160], s[10:11]
	v_mul_f64 v[155:156], v[151:152], s[54:55]
	s_mov_b32 s57, 0x3fefdd0d
	s_mov_b32 s56, s16
	v_mul_f64 v[179:180], v[147:148], s[8:9]
	v_mul_f64 v[181:182], v[151:152], s[2:3]
	v_fma_f64 v[16:17], v[121:122], s[34:35], -v[20:21]
	v_fma_f64 v[20:21], v[121:122], s[34:35], v[20:21]
	v_mul_f64 v[183:184], v[159:160], s[24:25]
	v_fma_f64 v[18:19], v[123:124], s[34:35], v[24:25]
	v_mul_f64 v[187:188], v[147:148], s[34:35]
	v_mul_f64 v[189:190], v[151:152], s[36:37]
	;; [unrolled: 1-line block ×3, first 2 shown]
	s_load_dwordx2 s[4:5], s[4:5], 0x8
	v_fma_f64 v[0:1], v[133:134], s[8:9], v[0:1]
	v_fma_f64 v[2:3], v[121:122], s[10:11], v[2:3]
	v_add_f64 v[0:1], v[52:53], v[0:1]
	v_add_f64 v[0:1], v[2:3], v[0:1]
	v_mul_f64 v[2:3], v[48:49], s[2:3]
	buffer_store_dword v2, off, s[60:63], 0 offset:32 ; 4-byte Folded Spill
	buffer_store_dword v3, off, s[60:63], 0 offset:36 ; 4-byte Folded Spill
	;; [unrolled: 1-line block ×4, first 2 shown]
	v_fma_f64 v[2:3], v[139:140], s[8:9], -v[2:3]
	v_fma_f64 v[4:5], v[123:124], s[10:11], -v[4:5]
	v_add_f64 v[2:3], v[54:55], v[2:3]
	v_add_f64 v[2:3], v[4:5], v[2:3]
	v_mul_f64 v[4:5], v[245:246], s[48:49]
	buffer_store_dword v4, off, s[60:63], 0 offset:40 ; 4-byte Folded Spill
	buffer_store_dword v5, off, s[60:63], 0 offset:44 ; 4-byte Folded Spill
	v_fma_f64 v[4:5], v[127:128], s[14:15], v[4:5]
	v_add_f64 v[0:1], v[4:5], v[0:1]
	v_mul_f64 v[4:5], v[247:248], s[48:49]
	buffer_store_dword v4, off, s[60:63], 0 offset:48 ; 4-byte Folded Spill
	buffer_store_dword v5, off, s[60:63], 0 offset:52 ; 4-byte Folded Spill
	v_fma_f64 v[4:5], v[131:132], s[14:15], -v[4:5]
	v_add_f64 v[2:3], v[4:5], v[2:3]
	v_mul_f64 v[4:5], v[253:254], s[16:17]
	buffer_store_dword v4, off, s[60:63], 0 offset:56 ; 4-byte Folded Spill
	buffer_store_dword v5, off, s[60:63], 0 offset:60 ; 4-byte Folded Spill
	v_fma_f64 v[4:5], v[141:142], s[18:19], v[4:5]
	v_add_f64 v[0:1], v[4:5], v[0:1]
	v_mul_f64 v[4:5], v[125:126], s[16:17]
	buffer_store_dword v4, off, s[60:63], 0 offset:64 ; 4-byte Folded Spill
	buffer_store_dword v5, off, s[60:63], 0 offset:68 ; 4-byte Folded Spill
	v_fma_f64 v[4:5], v[145:146], s[18:19], -v[4:5]
	;; [unrolled: 10-line block ×5, first 2 shown]
	v_add_f64 v[2:3], v[4:5], v[2:3]
	v_mul_f64 v[4:5], v[159:160], s[34:35]
	buffer_store_dword v4, off, s[60:63], 0 offset:120 ; 4-byte Folded Spill
	buffer_store_dword v5, off, s[60:63], 0 offset:124 ; 4-byte Folded Spill
	v_fma_f64 v[4:5], v[173:174], s[36:37], v[4:5]
	v_add_f64 v[0:1], v[4:5], v[0:1]
	v_mul_f64 v[4:5], v[163:164], s[36:37]
	buffer_store_dword v4, off, s[60:63], 0 offset:144 ; 4-byte Folded Spill
	buffer_store_dword v5, off, s[60:63], 0 offset:148 ; 4-byte Folded Spill
	;; [unrolled: 1-line block ×6, first 2 shown]
	v_fma_f64 v[4:5], v[175:176], s[34:35], -v[4:5]
	v_fma_f64 v[6:7], v[121:122], s[18:19], v[6:7]
	v_fma_f64 v[8:9], v[123:124], s[18:19], -v[8:9]
	v_add_f64 v[2:3], v[4:5], v[2:3]
	v_fma_f64 v[4:5], v[133:134], s[10:11], v[241:242]
	v_add_f64 v[4:5], v[52:53], v[4:5]
	v_add_f64 v[4:5], v[6:7], v[4:5]
	v_fma_f64 v[6:7], v[139:140], s[10:11], -v[243:244]
	v_add_f64 v[6:7], v[54:55], v[6:7]
	v_add_f64 v[6:7], v[8:9], v[6:7]
	v_mul_f64 v[8:9], v[245:246], s[30:31]
	buffer_store_dword v8, off, s[60:63], 0 offset:136 ; 4-byte Folded Spill
	buffer_store_dword v9, off, s[60:63], 0 offset:140 ; 4-byte Folded Spill
	v_fma_f64 v[8:9], v[127:128], s[24:25], v[8:9]
	v_add_f64 v[4:5], v[8:9], v[4:5]
	v_mul_f64 v[8:9], v[247:248], s[30:31]
	buffer_store_dword v8, off, s[60:63], 0 offset:168 ; 4-byte Folded Spill
	buffer_store_dword v9, off, s[60:63], 0 offset:172 ; 4-byte Folded Spill
	v_fma_f64 v[8:9], v[131:132], s[24:25], -v[8:9]
	v_add_f64 v[6:7], v[8:9], v[6:7]
	v_mul_f64 v[8:9], v[253:254], s[36:37]
	buffer_store_dword v8, off, s[60:63], 0 offset:152 ; 4-byte Folded Spill
	buffer_store_dword v9, off, s[60:63], 0 offset:156 ; 4-byte Folded Spill
	v_fma_f64 v[8:9], v[141:142], s[34:35], v[8:9]
	v_add_f64 v[4:5], v[8:9], v[4:5]
	v_mul_f64 v[8:9], v[125:126], s[36:37]
	buffer_store_dword v8, off, s[60:63], 0 offset:184 ; 4-byte Folded Spill
	buffer_store_dword v9, off, s[60:63], 0 offset:188 ; 4-byte Folded Spill
	v_fma_f64 v[8:9], v[145:146], s[34:35], -v[8:9]
	v_add_f64 v[6:7], v[8:9], v[6:7]
	v_mul_f64 v[8:9], v[129:130], s[28:29]
	buffer_store_dword v8, off, s[60:63], 0 offset:176 ; 4-byte Folded Spill
	buffer_store_dword v9, off, s[60:63], 0 offset:180 ; 4-byte Folded Spill
	v_fma_f64 v[8:9], v[149:150], s[38:39], v[8:9]
	v_add_f64 v[4:5], v[8:9], v[4:5]
	v_fma_f64 v[8:9], v[153:154], s[28:29], -v[207:208]
	v_add_f64 v[6:7], v[8:9], v[6:7]
	v_mul_f64 v[8:9], v[137:138], s[20:21]
	buffer_store_dword v8, off, s[60:63], 0 offset:192 ; 4-byte Folded Spill
	buffer_store_dword v9, off, s[60:63], 0 offset:196 ; 4-byte Folded Spill
	v_fma_f64 v[8:9], v[157:158], s[40:41], v[8:9]
	v_add_f64 v[4:5], v[8:9], v[4:5]
	v_fma_f64 v[8:9], v[161:162], s[20:21], -v[209:210]
	v_add_f64 v[6:7], v[8:9], v[6:7]
	v_mul_f64 v[8:9], v[147:148], s[14:15]
	buffer_store_dword v8, off, s[60:63], 0 offset:200 ; 4-byte Folded Spill
	buffer_store_dword v9, off, s[60:63], 0 offset:204 ; 4-byte Folded Spill
	s_waitcnt lgkmcnt(0)
	s_waitcnt_vscnt null, 0x0
	s_barrier
	buffer_gl0_inv
	v_fma_f64 v[8:9], v[165:166], s[42:43], v[8:9]
	v_add_f64 v[4:5], v[8:9], v[4:5]
	v_fma_f64 v[8:9], v[167:168], s[14:15], -v[211:212]
	v_add_f64 v[6:7], v[8:9], v[6:7]
	v_fma_f64 v[8:9], v[173:174], s[44:45], v[203:204]
	v_add_f64 v[4:5], v[8:9], v[4:5]
	v_fma_f64 v[8:9], v[175:176], s[8:9], -v[213:214]
	v_add_f64 v[6:7], v[8:9], v[6:7]
	v_fma_f64 v[8:9], v[133:134], s[14:15], v[249:250]
	v_add_f64 v[8:9], v[52:53], v[8:9]
	v_add_f64 v[8:9], v[10:11], v[8:9]
	v_fma_f64 v[10:11], v[139:140], s[14:15], -v[251:252]
	v_add_f64 v[10:11], v[54:55], v[10:11]
	v_add_f64 v[10:11], v[12:13], v[10:11]
	v_fma_f64 v[12:13], v[127:128], s[34:35], v[215:216]
	v_add_f64 v[8:9], v[12:13], v[8:9]
	v_fma_f64 v[12:13], v[131:132], s[34:35], -v[225:226]
	v_add_f64 v[10:11], v[12:13], v[10:11]
	v_fma_f64 v[12:13], v[141:142], s[20:21], v[219:220]
	v_add_f64 v[8:9], v[12:13], v[8:9]
	v_fma_f64 v[12:13], v[145:146], s[20:21], -v[231:232]
	v_add_f64 v[10:11], v[12:13], v[10:11]
	v_fma_f64 v[12:13], v[149:150], s[46:47], v[227:228]
	v_add_f64 v[8:9], v[12:13], v[8:9]
	v_fma_f64 v[12:13], v[153:154], s[10:11], -v[235:236]
	v_add_f64 v[10:11], v[12:13], v[10:11]
	v_fma_f64 v[12:13], v[157:158], s[2:3], v[229:230]
	v_add_f64 v[8:9], v[12:13], v[8:9]
	v_fma_f64 v[12:13], v[161:162], s[8:9], -v[239:240]
	v_add_f64 v[10:11], v[12:13], v[10:11]
	v_fma_f64 v[12:13], v[165:166], s[16:17], v[223:224]
	v_add_f64 v[8:9], v[12:13], v[8:9]
	v_fma_f64 v[12:13], v[167:168], s[18:19], -v[237:238]
	v_add_f64 v[10:11], v[12:13], v[10:11]
	v_fma_f64 v[12:13], v[173:174], s[26:27], v[221:222]
	v_add_f64 v[8:9], v[12:13], v[8:9]
	v_fma_f64 v[12:13], v[175:176], s[28:29], -v[233:234]
	v_add_f64 v[10:11], v[12:13], v[10:11]
	v_mul_f64 v[12:13], v[44:45], s[16:17]
	v_fma_f64 v[14:15], v[133:134], s[18:19], -v[12:13]
	v_fma_f64 v[12:13], v[133:134], s[18:19], v[12:13]
	v_add_f64 v[14:15], v[52:53], v[14:15]
	v_add_f64 v[12:13], v[52:53], v[12:13]
	;; [unrolled: 1-line block ×3, first 2 shown]
	v_fma_f64 v[16:17], v[139:140], s[18:19], v[22:23]
	v_add_f64 v[12:13], v[20:21], v[12:13]
	v_fma_f64 v[20:21], v[139:140], s[18:19], -v[22:23]
	v_fma_f64 v[22:23], v[123:124], s[34:35], -v[24:25]
	v_add_f64 v[16:17], v[54:55], v[16:17]
	v_add_f64 v[20:21], v[54:55], v[20:21]
	v_add_f64 v[16:17], v[18:19], v[16:17]
	v_fma_f64 v[18:19], v[127:128], s[20:21], -v[26:27]
	v_add_f64 v[20:21], v[22:23], v[20:21]
	v_fma_f64 v[22:23], v[127:128], s[20:21], v[26:27]
	v_add_f64 v[14:15], v[18:19], v[14:15]
	v_fma_f64 v[18:19], v[131:132], s[20:21], v[28:29]
	v_add_f64 v[12:13], v[22:23], v[12:13]
	v_fma_f64 v[22:23], v[131:132], s[20:21], -v[28:29]
	v_mul_f64 v[28:29], v[46:47], s[38:39]
	v_add_f64 v[16:17], v[18:19], v[16:17]
	v_fma_f64 v[18:19], v[141:142], s[8:9], -v[30:31]
	v_add_f64 v[20:21], v[22:23], v[20:21]
	v_fma_f64 v[22:23], v[141:142], s[8:9], v[30:31]
	v_fma_f64 v[24:25], v[121:122], s[28:29], -v[28:29]
	v_mul_f64 v[30:31], v[48:49], s[22:23]
	v_fma_f64 v[28:29], v[121:122], s[28:29], v[28:29]
	v_add_f64 v[14:15], v[18:19], v[14:15]
	v_fma_f64 v[18:19], v[145:146], s[8:9], v[32:33]
	v_add_f64 v[12:13], v[22:23], v[12:13]
	v_fma_f64 v[22:23], v[145:146], s[8:9], -v[32:33]
	v_mul_f64 v[32:33], v[50:51], s[38:39]
	v_add_f64 v[16:17], v[18:19], v[16:17]
	v_fma_f64 v[18:19], v[149:150], s[42:43], v[34:35]
	v_add_f64 v[20:21], v[22:23], v[20:21]
	v_fma_f64 v[22:23], v[149:150], s[48:49], v[34:35]
	v_fma_f64 v[26:27], v[123:124], s[28:29], v[32:33]
	v_mul_f64 v[34:35], v[245:246], s[46:47]
	v_add_f64 v[14:15], v[18:19], v[14:15]
	v_fma_f64 v[18:19], v[153:154], s[14:15], v[36:37]
	v_add_f64 v[12:13], v[22:23], v[12:13]
	v_fma_f64 v[22:23], v[153:154], s[14:15], -v[36:37]
	v_mul_f64 v[36:37], v[247:248], s[46:47]
	v_add_f64 v[16:17], v[18:19], v[16:17]
	v_fma_f64 v[18:19], v[157:158], s[38:39], v[38:39]
	v_add_f64 v[20:21], v[22:23], v[20:21]
	v_fma_f64 v[22:23], v[157:158], s[26:27], v[38:39]
	v_mul_f64 v[38:39], v[253:254], s[48:49]
	v_add_f64 v[14:15], v[18:19], v[14:15]
	v_fma_f64 v[18:19], v[161:162], s[28:29], v[40:41]
	v_add_f64 v[12:13], v[22:23], v[12:13]
	v_fma_f64 v[22:23], v[161:162], s[28:29], -v[40:41]
	v_mul_f64 v[40:41], v[125:126], s[48:49]
	v_add_f64 v[16:17], v[18:19], v[16:17]
	v_fma_f64 v[18:19], v[165:166], s[30:31], v[42:43]
	v_add_f64 v[20:21], v[22:23], v[20:21]
	;; [unrolled: 10-line block ×3, first 2 shown]
	v_fma_f64 v[22:23], v[173:174], s[46:47], v[170:171]
	v_mul_f64 v[170:171], v[137:138], s[18:19]
	v_add_f64 v[16:17], v[16:17], v[14:15]
	v_mul_f64 v[14:15], v[163:164], s[46:47]
	v_add_f64 v[12:13], v[22:23], v[12:13]
	v_fma_f64 v[177:178], v[175:176], s[10:11], v[14:15]
	v_fma_f64 v[14:15], v[175:176], s[10:11], -v[14:15]
	v_add_f64 v[18:19], v[177:178], v[18:19]
	v_add_f64 v[14:15], v[14:15], v[20:21]
	v_mul_f64 v[20:21], v[44:45], s[22:23]
	v_mul_f64 v[177:178], v[143:144], s[56:57]
	v_fma_f64 v[22:23], v[133:134], s[20:21], -v[20:21]
	v_fma_f64 v[20:21], v[133:134], s[20:21], v[20:21]
	v_add_f64 v[22:23], v[52:53], v[22:23]
	v_add_f64 v[20:21], v[52:53], v[20:21]
	;; [unrolled: 1-line block ×3, first 2 shown]
	v_fma_f64 v[24:25], v[139:140], s[20:21], v[30:31]
	v_add_f64 v[20:21], v[28:29], v[20:21]
	v_fma_f64 v[28:29], v[139:140], s[20:21], -v[30:31]
	v_fma_f64 v[30:31], v[123:124], s[28:29], -v[32:33]
	v_add_f64 v[24:25], v[54:55], v[24:25]
	v_add_f64 v[28:29], v[54:55], v[28:29]
	;; [unrolled: 1-line block ×3, first 2 shown]
	v_fma_f64 v[26:27], v[127:128], s[10:11], -v[34:35]
	v_add_f64 v[28:29], v[30:31], v[28:29]
	v_fma_f64 v[30:31], v[127:128], s[10:11], v[34:35]
	v_add_f64 v[22:23], v[26:27], v[22:23]
	v_fma_f64 v[26:27], v[131:132], s[10:11], v[36:37]
	v_add_f64 v[20:21], v[30:31], v[20:21]
	v_fma_f64 v[30:31], v[131:132], s[10:11], -v[36:37]
	v_mul_f64 v[36:37], v[46:47], s[40:41]
	v_add_f64 v[24:25], v[26:27], v[24:25]
	v_fma_f64 v[26:27], v[141:142], s[14:15], -v[38:39]
	v_add_f64 v[28:29], v[30:31], v[28:29]
	v_fma_f64 v[30:31], v[141:142], s[14:15], v[38:39]
	v_fma_f64 v[32:33], v[121:122], s[20:21], -v[36:37]
	v_mul_f64 v[38:39], v[48:49], s[30:31]
	v_fma_f64 v[36:37], v[121:122], s[20:21], v[36:37]
	v_add_f64 v[22:23], v[26:27], v[22:23]
	v_fma_f64 v[26:27], v[145:146], s[14:15], v[40:41]
	v_add_f64 v[20:21], v[30:31], v[20:21]
	v_fma_f64 v[30:31], v[145:146], s[14:15], -v[40:41]
	v_mul_f64 v[40:41], v[50:51], s[40:41]
	v_add_f64 v[24:25], v[26:27], v[24:25]
	v_fma_f64 v[26:27], v[149:150], s[52:53], v[42:43]
	v_add_f64 v[28:29], v[30:31], v[28:29]
	v_fma_f64 v[30:31], v[149:150], s[36:37], v[42:43]
	v_fma_f64 v[34:35], v[123:124], s[20:21], v[40:41]
	v_mul_f64 v[42:43], v[245:246], s[2:3]
	v_add_f64 v[22:23], v[26:27], v[22:23]
	v_fma_f64 v[26:27], v[153:154], s[34:35], v[155:156]
	v_add_f64 v[20:21], v[30:31], v[20:21]
	v_fma_f64 v[30:31], v[153:154], s[34:35], -v[155:156]
	v_mul_f64 v[155:156], v[247:248], s[2:3]
	v_add_f64 v[24:25], v[26:27], v[24:25]
	v_fma_f64 v[26:27], v[157:158], s[16:17], v[170:171]
	v_add_f64 v[28:29], v[30:31], v[28:29]
	v_fma_f64 v[30:31], v[157:158], s[56:57], v[170:171]
	v_mul_f64 v[170:171], v[253:254], s[26:27]
	v_add_f64 v[22:23], v[26:27], v[22:23]
	v_fma_f64 v[26:27], v[161:162], s[18:19], v[177:178]
	v_add_f64 v[20:21], v[30:31], v[20:21]
	v_fma_f64 v[30:31], v[161:162], s[18:19], -v[177:178]
	v_mul_f64 v[177:178], v[125:126], s[26:27]
	v_add_f64 v[24:25], v[26:27], v[24:25]
	v_fma_f64 v[26:27], v[165:166], s[44:45], v[179:180]
	v_add_f64 v[28:29], v[30:31], v[28:29]
	;; [unrolled: 10-line block ×3, first 2 shown]
	v_fma_f64 v[30:31], v[173:174], s[30:31], v[183:184]
	v_mul_f64 v[183:184], v[137:138], s[10:11]
	v_add_f64 v[24:25], v[24:25], v[22:23]
	v_mul_f64 v[22:23], v[163:164], s[30:31]
	v_add_f64 v[20:21], v[30:31], v[20:21]
	v_fma_f64 v[185:186], v[175:176], s[24:25], v[22:23]
	v_fma_f64 v[22:23], v[175:176], s[24:25], -v[22:23]
	v_add_f64 v[26:27], v[185:186], v[26:27]
	v_add_f64 v[22:23], v[22:23], v[28:29]
	v_mul_f64 v[28:29], v[44:45], s[30:31]
	v_mul_f64 v[185:186], v[143:144], s[50:51]
	v_fma_f64 v[30:31], v[133:134], s[24:25], -v[28:29]
	v_fma_f64 v[28:29], v[133:134], s[24:25], v[28:29]
	v_add_f64 v[30:31], v[52:53], v[30:31]
	v_add_f64 v[28:29], v[52:53], v[28:29]
	;; [unrolled: 1-line block ×3, first 2 shown]
	v_fma_f64 v[32:33], v[139:140], s[24:25], v[38:39]
	v_add_f64 v[28:29], v[36:37], v[28:29]
	v_fma_f64 v[36:37], v[139:140], s[24:25], -v[38:39]
	v_fma_f64 v[38:39], v[123:124], s[20:21], -v[40:41]
	v_mul_f64 v[40:41], v[44:45], s[26:27]
	v_add_f64 v[32:33], v[54:55], v[32:33]
	v_add_f64 v[36:37], v[54:55], v[36:37]
	;; [unrolled: 1-line block ×3, first 2 shown]
	v_fma_f64 v[34:35], v[127:128], s[8:9], -v[42:43]
	v_add_f64 v[36:37], v[38:39], v[36:37]
	v_fma_f64 v[38:39], v[127:128], s[8:9], v[42:43]
	v_mul_f64 v[42:43], v[46:47], s[42:43]
	v_add_f64 v[30:31], v[34:35], v[30:31]
	v_fma_f64 v[34:35], v[131:132], s[8:9], v[155:156]
	v_add_f64 v[28:29], v[38:39], v[28:29]
	v_fma_f64 v[38:39], v[131:132], s[8:9], -v[155:156]
	v_mul_f64 v[155:156], v[48:49], s[26:27]
	v_mul_f64 v[48:49], v[48:49], s[36:37]
	v_add_f64 v[32:33], v[34:35], v[32:33]
	v_fma_f64 v[34:35], v[141:142], s[28:29], -v[170:171]
	v_add_f64 v[36:37], v[38:39], v[36:37]
	v_fma_f64 v[38:39], v[141:142], s[28:29], v[170:171]
	v_mul_f64 v[170:171], v[50:51], s[42:43]
	v_mul_f64 v[50:51], v[50:51], s[44:45]
	v_add_f64 v[30:31], v[34:35], v[30:31]
	v_fma_f64 v[34:35], v[145:146], s[28:29], v[177:178]
	v_add_f64 v[28:29], v[38:39], v[28:29]
	v_fma_f64 v[38:39], v[145:146], s[28:29], -v[177:178]
	v_fma_f64 v[177:178], v[123:124], s[14:15], v[170:171]
	v_add_f64 v[32:33], v[34:35], v[32:33]
	v_fma_f64 v[34:35], v[149:150], s[16:17], v[179:180]
	v_add_f64 v[36:37], v[38:39], v[36:37]
	v_fma_f64 v[38:39], v[149:150], s[56:57], v[179:180]
	v_add_f64 v[30:31], v[34:35], v[30:31]
	v_fma_f64 v[34:35], v[153:154], s[18:19], v[181:182]
	v_add_f64 v[28:29], v[38:39], v[28:29]
	v_fma_f64 v[38:39], v[153:154], s[18:19], -v[181:182]
	v_add_f64 v[32:33], v[34:35], v[32:33]
	v_fma_f64 v[34:35], v[157:158], s[46:47], v[183:184]
	v_add_f64 v[36:37], v[38:39], v[36:37]
	v_fma_f64 v[38:39], v[157:158], s[50:51], v[183:184]
	v_add_f64 v[30:31], v[34:35], v[30:31]
	v_fma_f64 v[34:35], v[161:162], s[10:11], v[185:186]
	v_add_f64 v[28:29], v[38:39], v[28:29]
	v_fma_f64 v[38:39], v[161:162], s[10:11], -v[185:186]
	v_add_f64 v[32:33], v[34:35], v[32:33]
	v_fma_f64 v[34:35], v[165:166], s[52:53], v[187:188]
	v_add_f64 v[36:37], v[38:39], v[36:37]
	v_fma_f64 v[38:39], v[165:166], s[36:37], v[187:188]
	v_add_f64 v[30:31], v[34:35], v[30:31]
	v_fma_f64 v[34:35], v[167:168], s[34:35], v[189:190]
	v_add_f64 v[28:29], v[38:39], v[28:29]
	v_fma_f64 v[38:39], v[167:168], s[34:35], -v[189:190]
	v_add_f64 v[34:35], v[34:35], v[32:33]
	v_fma_f64 v[32:33], v[173:174], s[48:49], v[191:192]
	v_add_f64 v[36:37], v[38:39], v[36:37]
	v_fma_f64 v[38:39], v[173:174], s[42:43], v[191:192]
	v_add_f64 v[32:33], v[32:33], v[30:31]
	v_mul_f64 v[30:31], v[163:164], s[42:43]
	v_add_f64 v[28:29], v[38:39], v[28:29]
	v_fma_f64 v[38:39], v[121:122], s[14:15], -v[42:43]
	v_fma_f64 v[42:43], v[121:122], s[14:15], v[42:43]
	v_fma_f64 v[193:194], v[175:176], s[14:15], v[30:31]
	v_fma_f64 v[30:31], v[175:176], s[14:15], -v[30:31]
	v_add_f64 v[34:35], v[193:194], v[34:35]
	v_add_f64 v[30:31], v[30:31], v[36:37]
	v_fma_f64 v[36:37], v[133:134], s[28:29], -v[40:41]
	v_fma_f64 v[40:41], v[133:134], s[28:29], v[40:41]
	v_add_f64 v[36:37], v[52:53], v[36:37]
	v_add_f64 v[40:41], v[52:53], v[40:41]
	v_add_f64 v[36:37], v[38:39], v[36:37]
	v_fma_f64 v[38:39], v[139:140], s[28:29], v[155:156]
	v_add_f64 v[40:41], v[42:43], v[40:41]
	v_fma_f64 v[42:43], v[139:140], s[28:29], -v[155:156]
	v_fma_f64 v[155:156], v[123:124], s[14:15], -v[170:171]
	v_add_f64 v[38:39], v[54:55], v[38:39]
	v_add_f64 v[42:43], v[54:55], v[42:43]
	;; [unrolled: 1-line block ×3, first 2 shown]
	v_mul_f64 v[177:178], v[245:246], s[16:17]
	v_add_f64 v[42:43], v[155:156], v[42:43]
	v_fma_f64 v[179:180], v[127:128], s[18:19], -v[177:178]
	v_fma_f64 v[155:156], v[127:128], s[18:19], v[177:178]
	v_fma_f64 v[177:178], v[123:124], s[8:9], v[50:51]
	v_fma_f64 v[50:51], v[123:124], s[8:9], -v[50:51]
	v_add_f64 v[36:37], v[179:180], v[36:37]
	v_mul_f64 v[179:180], v[247:248], s[16:17]
	v_add_f64 v[40:41], v[155:156], v[40:41]
	v_fma_f64 v[181:182], v[131:132], s[18:19], v[179:180]
	v_fma_f64 v[155:156], v[131:132], s[18:19], -v[179:180]
	v_add_f64 v[38:39], v[181:182], v[38:39]
	v_mul_f64 v[181:182], v[253:254], s[54:55]
	v_add_f64 v[42:43], v[155:156], v[42:43]
	v_fma_f64 v[183:184], v[141:142], s[24:25], -v[181:182]
	v_fma_f64 v[155:156], v[141:142], s[24:25], v[181:182]
	v_add_f64 v[36:37], v[183:184], v[36:37]
	v_mul_f64 v[183:184], v[125:126], s[54:55]
	v_add_f64 v[40:41], v[155:156], v[40:41]
	v_mul_f64 v[125:126], v[125:126], s[46:47]
	v_fma_f64 v[185:186], v[145:146], s[24:25], v[183:184]
	v_fma_f64 v[155:156], v[145:146], s[24:25], -v[183:184]
	v_add_f64 v[38:39], v[185:186], v[38:39]
	v_mul_f64 v[185:186], v[129:130], s[8:9]
	v_add_f64 v[42:43], v[155:156], v[42:43]
	v_mul_f64 v[129:130], v[129:130], s[24:25]
	v_fma_f64 v[187:188], v[149:150], s[44:45], v[185:186]
	v_fma_f64 v[155:156], v[149:150], s[2:3], v[185:186]
	v_add_f64 v[36:37], v[187:188], v[36:37]
	v_mul_f64 v[187:188], v[135:136], s[2:3]
	v_add_f64 v[40:41], v[155:156], v[40:41]
	v_mul_f64 v[135:136], v[135:136], s[30:31]
	v_fma_f64 v[189:190], v[153:154], s[8:9], v[187:188]
	v_fma_f64 v[155:156], v[153:154], s[8:9], -v[187:188]
	v_add_f64 v[38:39], v[189:190], v[38:39]
	v_mul_f64 v[189:190], v[137:138], s[34:35]
	v_add_f64 v[42:43], v[155:156], v[42:43]
	v_mul_f64 v[137:138], v[137:138], s[14:15]
	v_fma_f64 v[191:192], v[157:158], s[52:53], v[189:190]
	;; [unrolled: 12-line block ×4, first 2 shown]
	v_fma_f64 v[155:156], v[173:174], s[22:23], v[197:198]
	v_add_f64 v[36:37], v[199:200], v[36:37]
	v_mul_f64 v[199:200], v[163:164], s[22:23]
	v_add_f64 v[40:41], v[155:156], v[40:41]
	v_mul_f64 v[155:156], v[44:45], s[36:37]
	v_mul_f64 v[163:164], v[163:164], s[56:57]
	v_fma_f64 v[170:171], v[175:176], s[20:21], -v[199:200]
	v_fma_f64 v[201:202], v[175:176], s[20:21], v[199:200]
	v_fma_f64 v[44:45], v[133:134], s[34:35], -v[155:156]
	v_fma_f64 v[155:156], v[133:134], s[34:35], v[155:156]
	v_add_f64 v[42:43], v[170:171], v[42:43]
	v_mul_f64 v[170:171], v[46:47], s[44:45]
	v_add_f64 v[44:45], v[52:53], v[44:45]
	v_add_f64 v[155:156], v[52:53], v[155:156]
	;; [unrolled: 1-line block ×3, first 2 shown]
	v_fma_f64 v[46:47], v[121:122], s[8:9], -v[170:171]
	v_fma_f64 v[170:171], v[121:122], s[8:9], v[170:171]
	v_add_f64 v[44:45], v[46:47], v[44:45]
	v_fma_f64 v[46:47], v[139:140], s[34:35], v[48:49]
	v_fma_f64 v[48:49], v[139:140], s[34:35], -v[48:49]
	v_add_f64 v[155:156], v[170:171], v[155:156]
	v_add_f64 v[46:47], v[54:55], v[46:47]
	;; [unrolled: 1-line block ×4, first 2 shown]
	v_mul_f64 v[177:178], v[245:246], s[26:27]
	v_add_f64 v[48:49], v[50:51], v[48:49]
	v_mul_lo_u16 v245, v255, 17
	v_fma_f64 v[179:180], v[127:128], s[28:29], -v[177:178]
	v_fma_f64 v[50:51], v[127:128], s[28:29], v[177:178]
	v_add_f64 v[44:45], v[179:180], v[44:45]
	v_mul_f64 v[179:180], v[247:248], s[26:27]
	v_add_f64 v[50:51], v[50:51], v[155:156]
	v_fma_f64 v[181:182], v[131:132], s[28:29], v[179:180]
	v_fma_f64 v[155:156], v[131:132], s[28:29], -v[179:180]
	v_add_f64 v[46:47], v[181:182], v[46:47]
	v_mul_f64 v[181:182], v[253:254], s[46:47]
	v_add_f64 v[48:49], v[155:156], v[48:49]
	v_fma_f64 v[183:184], v[141:142], s[10:11], -v[181:182]
	v_fma_f64 v[155:156], v[141:142], s[10:11], v[181:182]
	v_add_f64 v[44:45], v[183:184], v[44:45]
	v_fma_f64 v[183:184], v[145:146], s[10:11], v[125:126]
	v_fma_f64 v[125:126], v[145:146], s[10:11], -v[125:126]
	v_add_f64 v[50:51], v[155:156], v[50:51]
	v_add_f64 v[46:47], v[183:184], v[46:47]
	v_fma_f64 v[183:184], v[149:150], s[54:55], v[129:130]
	v_add_f64 v[48:49], v[125:126], v[48:49]
	v_fma_f64 v[125:126], v[149:150], s[30:31], v[129:130]
	v_fma_f64 v[129:130], v[175:176], s[18:19], -v[163:164]
	v_add_f64 v[44:45], v[183:184], v[44:45]
	v_fma_f64 v[183:184], v[153:154], s[24:25], v[135:136]
	v_add_f64 v[50:51], v[125:126], v[50:51]
	v_fma_f64 v[125:126], v[153:154], s[24:25], -v[135:136]
	v_add_f64 v[46:47], v[183:184], v[46:47]
	v_fma_f64 v[183:184], v[157:158], s[48:49], v[137:138]
	v_add_f64 v[48:49], v[125:126], v[48:49]
	v_fma_f64 v[125:126], v[157:158], s[42:43], v[137:138]
	v_add_f64 v[44:45], v[183:184], v[44:45]
	v_fma_f64 v[183:184], v[161:162], s[14:15], v[143:144]
	v_add_f64 v[50:51], v[125:126], v[50:51]
	v_fma_f64 v[125:126], v[161:162], s[14:15], -v[143:144]
	v_add_f64 v[46:47], v[183:184], v[46:47]
	v_fma_f64 v[183:184], v[165:166], s[40:41], v[147:148]
	v_add_f64 v[48:49], v[125:126], v[48:49]
	v_fma_f64 v[125:126], v[165:166], s[22:23], v[147:148]
	;; [unrolled: 8-line block ×3, first 2 shown]
	v_add_f64 v[44:45], v[183:184], v[44:45]
	v_fma_f64 v[183:184], v[175:176], s[18:19], v[163:164]
	v_add_f64 v[48:49], v[48:49], v[50:51]
	v_add_f64 v[50:51], v[129:130], v[125:126]
	;; [unrolled: 1-line block ×3, first 2 shown]
	s_and_saveexec_b32 s33, vcc_lo
	s_cbranch_execz .LBB0_7
; %bb.6:
	v_add_f64 v[84:85], v[52:53], v[84:85]
	v_add_f64 v[86:87], v[54:55], v[86:87]
	;; [unrolled: 1-line block ×28, first 2 shown]
	v_mul_f64 v[64:65], v[139:140], s[10:11]
	v_mul_f64 v[66:67], v[139:140], s[8:9]
	v_add_f64 v[56:57], v[60:61], v[56:57]
	v_add_f64 v[58:59], v[62:63], v[58:59]
	v_mul_f64 v[60:61], v[139:140], s[14:15]
	v_mul_f64 v[62:63], v[133:134], s[14:15]
	v_add_f64 v[64:65], v[243:244], v[64:65]
	v_add_f64 v[56:57], v[68:69], v[56:57]
	s_clause 0x1
	buffer_load_dword v68, off, s[60:63], 0 offset:32
	buffer_load_dword v69, off, s[60:63], 0 offset:36
	v_add_f64 v[58:59], v[70:71], v[58:59]
	s_clause 0x1
	buffer_load_dword v70, off, s[60:63], 0 offset:24
	buffer_load_dword v71, off, s[60:63], 0 offset:28
	v_add_f64 v[60:61], v[251:252], v[60:61]
	v_add_f64 v[62:63], v[62:63], -v[249:250]
	v_add_f64 v[72:73], v[54:55], v[60:61]
	v_add_f64 v[60:61], v[54:55], v[64:65]
	;; [unrolled: 1-line block ×3, first 2 shown]
	s_waitcnt vmcnt(2)
	v_add_f64 v[66:67], v[68:69], v[66:67]
	v_mul_f64 v[68:69], v[133:134], s[8:9]
	v_add_f64 v[54:55], v[54:55], v[66:67]
	s_waitcnt vmcnt(0)
	v_add_f64 v[68:69], v[68:69], -v[70:71]
	v_mul_f64 v[70:71], v[133:134], s[10:11]
	s_clause 0x1
	buffer_load_dword v66, off, s[60:63], 0 offset:16
	buffer_load_dword v67, off, s[60:63], 0 offset:20
	v_add_f64 v[62:63], v[52:53], v[68:69]
	v_add_f64 v[70:71], v[70:71], -v[241:242]
	s_clause 0x1
	buffer_load_dword v68, off, s[60:63], 0 offset:8
	buffer_load_dword v69, off, s[60:63], 0 offset:12
	v_add_f64 v[64:65], v[52:53], v[70:71]
	s_clause 0x5
	buffer_load_dword v70, off, s[60:63], 0 offset:48
	buffer_load_dword v71, off, s[60:63], 0 offset:52
	buffer_load_dword v76, off, s[60:63], 0 offset:40
	buffer_load_dword v77, off, s[60:63], 0 offset:44
	buffer_load_dword v78, off, s[60:63], 0 offset:64
	buffer_load_dword v79, off, s[60:63], 0 offset:68
	v_mul_f64 v[52:53], v[123:124], s[10:11]
	s_clause 0x7
	buffer_load_dword v80, off, s[60:63], 0 offset:56
	buffer_load_dword v81, off, s[60:63], 0 offset:60
	buffer_load_dword v82, off, s[60:63], 0 offset:80
	buffer_load_dword v83, off, s[60:63], 0 offset:84
	buffer_load_dword v84, off, s[60:63], 0 offset:72
	buffer_load_dword v85, off, s[60:63], 0 offset:76
	buffer_load_dword v86, off, s[60:63], 0 offset:96
	buffer_load_dword v87, off, s[60:63], 0 offset:100
	s_waitcnt vmcnt(16)
	v_add_f64 v[52:53], v[66:67], v[52:53]
	v_mul_f64 v[66:67], v[121:122], s[10:11]
	v_add_f64 v[52:53], v[52:53], v[54:55]
	s_waitcnt vmcnt(14)
	v_add_f64 v[66:67], v[66:67], -v[68:69]
	v_mul_f64 v[68:69], v[131:132], s[14:15]
	v_add_f64 v[54:55], v[66:67], v[62:63]
	s_waitcnt vmcnt(12)
	v_add_f64 v[68:69], v[70:71], v[68:69]
	v_mul_f64 v[70:71], v[127:128], s[14:15]
	s_clause 0x1
	buffer_load_dword v66, off, s[60:63], 0 offset:88
	buffer_load_dword v67, off, s[60:63], 0 offset:92
	v_mul_f64 v[62:63], v[157:158], s[30:31]
	v_add_f64 v[52:53], v[68:69], v[52:53]
	s_waitcnt vmcnt(12)
	v_add_f64 v[70:71], v[70:71], -v[76:77]
	v_mul_f64 v[76:77], v[145:146], s[18:19]
	s_clause 0x1
	buffer_load_dword v68, off, s[60:63], 0 offset:112
	buffer_load_dword v69, off, s[60:63], 0 offset:116
	v_add_f64 v[54:55], v[70:71], v[54:55]
	s_waitcnt vmcnt(12)
	v_add_f64 v[76:77], v[78:79], v[76:77]
	s_clause 0x1
	buffer_load_dword v70, off, s[60:63], 0 offset:104
	buffer_load_dword v71, off, s[60:63], 0 offset:108
	v_mul_f64 v[78:79], v[141:142], s[18:19]
	v_add_f64 v[52:53], v[76:77], v[52:53]
	s_clause 0x1
	buffer_load_dword v76, off, s[60:63], 0 offset:144
	buffer_load_dword v77, off, s[60:63], 0 offset:148
	s_waitcnt vmcnt(14)
	v_add_f64 v[78:79], v[78:79], -v[80:81]
	v_mul_f64 v[80:81], v[153:154], s[20:21]
	v_add_f64 v[54:55], v[78:79], v[54:55]
	s_waitcnt vmcnt(12)
	v_add_f64 v[80:81], v[80:81], v[82:83]
	v_mul_f64 v[82:83], v[149:150], s[22:23]
	v_add_f64 v[52:53], v[80:81], v[52:53]
	s_waitcnt vmcnt(10)
	v_add_f64 v[82:83], v[84:85], -v[82:83]
	v_mul_f64 v[84:85], v[161:162], s[24:25]
	v_add_f64 v[54:55], v[82:83], v[54:55]
	s_waitcnt vmcnt(8)
	v_add_f64 v[84:85], v[84:85], v[86:87]
	v_mul_f64 v[82:83], v[149:150], s[38:39]
	v_add_f64 v[52:53], v[84:85], v[52:53]
	s_waitcnt vmcnt(6)
	v_add_f64 v[62:63], v[66:67], -v[62:63]
	v_mul_f64 v[66:67], v[167:168], s[28:29]
	v_add_f64 v[54:55], v[62:63], v[54:55]
	s_waitcnt vmcnt(4)
	v_add_f64 v[66:67], v[66:67], v[68:69]
	v_mul_f64 v[68:69], v[165:166], s[26:27]
	v_mul_f64 v[62:63], v[173:174], s[36:37]
	v_add_f64 v[52:53], v[66:67], v[52:53]
	s_waitcnt vmcnt(2)
	v_add_f64 v[68:69], v[70:71], -v[68:69]
	v_mul_f64 v[70:71], v[175:176], s[34:35]
	v_add_f64 v[66:67], v[68:69], v[54:55]
	s_waitcnt vmcnt(0)
	v_add_f64 v[70:71], v[70:71], v[76:77]
	s_clause 0x1
	buffer_load_dword v76, off, s[60:63], 0 offset:120
	buffer_load_dword v77, off, s[60:63], 0 offset:124
	v_add_f64 v[54:55], v[70:71], v[52:53]
	s_waitcnt vmcnt(0)
	v_add_f64 v[62:63], v[76:77], -v[62:63]
	v_add_f64 v[52:53], v[62:63], v[66:67]
	s_clause 0x7
	buffer_load_dword v66, off, s[60:63], 0 offset:160
	buffer_load_dword v67, off, s[60:63], 0 offset:164
	;; [unrolled: 1-line block ×8, first 2 shown]
	v_mul_f64 v[62:63], v[123:124], s[18:19]
	s_clause 0x5
	buffer_load_dword v78, off, s[60:63], 0 offset:184
	buffer_load_dword v79, off, s[60:63], 0 offset:188
	buffer_load_dword v80, off, s[60:63], 0 offset:152
	buffer_load_dword v81, off, s[60:63], 0 offset:156
	buffer_load_dword v84, off, s[60:63], 0 offset:176
	buffer_load_dword v85, off, s[60:63], 0 offset:180
	s_waitcnt vmcnt(12)
	v_add_f64 v[62:63], v[66:67], v[62:63]
	v_mul_f64 v[66:67], v[121:122], s[18:19]
	s_waitcnt vmcnt(0)
	v_add_f64 v[82:83], v[84:85], -v[82:83]
	v_mul_f64 v[84:85], v[161:162], s[20:21]
	v_add_f64 v[60:61], v[62:63], v[60:61]
	v_add_f64 v[66:67], v[66:67], -v[68:69]
	v_mul_f64 v[68:69], v[131:132], s[24:25]
	v_add_f64 v[84:85], v[84:85], v[209:210]
	v_add_f64 v[62:63], v[66:67], v[64:65]
	;; [unrolled: 1-line block ×3, first 2 shown]
	v_mul_f64 v[70:71], v[127:128], s[24:25]
	s_clause 0x1
	buffer_load_dword v66, off, s[60:63], 0 offset:192
	buffer_load_dword v67, off, s[60:63], 0 offset:196
	v_mul_f64 v[64:65], v[157:158], s[40:41]
	v_add_f64 v[60:61], v[68:69], v[60:61]
	v_add_f64 v[70:71], v[70:71], -v[76:77]
	v_mul_f64 v[76:77], v[145:146], s[34:35]
	v_mul_f64 v[68:69], v[165:166], s[42:43]
	v_add_f64 v[62:63], v[70:71], v[62:63]
	s_clause 0x1
	buffer_load_dword v70, off, s[60:63], 0 offset:200
	buffer_load_dword v71, off, s[60:63], 0 offset:204
	v_add_f64 v[76:77], v[78:79], v[76:77]
	v_mul_f64 v[78:79], v[141:142], s[34:35]
	v_add_f64 v[60:61], v[76:77], v[60:61]
	v_add_f64 v[78:79], v[78:79], -v[80:81]
	v_mul_f64 v[80:81], v[153:154], s[28:29]
	v_mul_f64 v[76:77], v[145:146], s[20:21]
	v_add_f64 v[62:63], v[78:79], v[62:63]
	v_add_f64 v[80:81], v[80:81], v[207:208]
	v_mul_f64 v[78:79], v[141:142], s[20:21]
	v_add_f64 v[76:77], v[231:232], v[76:77]
	v_add_f64 v[62:63], v[82:83], v[62:63]
	v_add_f64 v[60:61], v[80:81], v[60:61]
	v_add_f64 v[78:79], v[78:79], -v[219:220]
	v_mul_f64 v[80:81], v[153:154], s[10:11]
	v_mul_f64 v[82:83], v[149:150], s[46:47]
	v_add_f64 v[60:61], v[84:85], v[60:61]
	v_mul_f64 v[84:85], v[161:162], s[8:9]
	v_add_f64 v[80:81], v[80:81], v[235:236]
	v_add_f64 v[82:83], v[227:228], -v[82:83]
	v_add_f64 v[84:85], v[84:85], v[239:240]
	s_waitcnt vmcnt(2)
	v_add_f64 v[64:65], v[66:67], -v[64:65]
	v_mul_f64 v[66:67], v[167:168], s[14:15]
	v_add_f64 v[62:63], v[64:65], v[62:63]
	v_add_f64 v[66:67], v[66:67], v[211:212]
	v_mul_f64 v[64:65], v[173:174], s[44:45]
	s_waitcnt vmcnt(0)
	v_add_f64 v[68:69], v[70:71], -v[68:69]
	v_mul_f64 v[70:71], v[175:176], s[8:9]
	v_add_f64 v[64:65], v[203:204], -v[64:65]
	v_add_f64 v[60:61], v[66:67], v[60:61]
	v_add_f64 v[66:67], v[68:69], v[62:63]
	;; [unrolled: 1-line block ×3, first 2 shown]
	v_mul_f64 v[68:69], v[131:132], s[34:35]
	v_add_f64 v[62:63], v[70:71], v[60:61]
	v_add_f64 v[60:61], v[64:65], v[66:67]
	v_mul_f64 v[64:65], v[123:124], s[24:25]
	v_mul_f64 v[66:67], v[121:122], s[24:25]
	;; [unrolled: 1-line block ×3, first 2 shown]
	v_add_f64 v[68:69], v[225:226], v[68:69]
	v_add_f64 v[64:65], v[217:218], v[64:65]
	v_add_f64 v[66:67], v[66:67], -v[205:206]
	v_add_f64 v[70:71], v[70:71], -v[215:216]
	v_add_f64 v[64:65], v[64:65], v[72:73]
	v_add_f64 v[66:67], v[66:67], v[74:75]
	v_mul_f64 v[72:73], v[157:158], s[2:3]
	v_mul_f64 v[74:75], v[175:176], s[28:29]
	v_add_f64 v[64:65], v[68:69], v[64:65]
	v_add_f64 v[66:67], v[70:71], v[66:67]
	v_add_f64 v[72:73], v[229:230], -v[72:73]
	v_mul_f64 v[68:69], v[167:168], s[18:19]
	v_mul_f64 v[70:71], v[165:166], s[16:17]
	v_add_f64 v[74:75], v[74:75], v[233:234]
	v_add_f64 v[64:65], v[76:77], v[64:65]
	;; [unrolled: 1-line block ×4, first 2 shown]
	v_add_f64 v[70:71], v[223:224], -v[70:71]
	v_add_f64 v[64:65], v[80:81], v[64:65]
	v_add_f64 v[66:67], v[82:83], v[66:67]
	;; [unrolled: 1-line block ×4, first 2 shown]
	v_mul_f64 v[72:73], v[173:174], s[26:27]
	v_add_f64 v[64:65], v[68:69], v[64:65]
	v_add_f64 v[68:69], v[70:71], v[66:67]
	v_add_f64 v[72:73], v[221:222], -v[72:73]
	v_and_b32_e32 v70, 0xffff, v245
	v_add_f64 v[66:67], v[74:75], v[64:65]
	v_add_f64 v[64:65], v[72:73], v[68:69]
	buffer_load_dword v68, off, s[60:63], 0 offset:4 ; 4-byte Folded Reload
	s_waitcnt vmcnt(0)
	v_add_lshl_u32 v68, v68, v70, 4
	ds_write_b128 v68, v[16:19] offset:64
	ds_write_b128 v68, v[24:27] offset:80
	;; [unrolled: 1-line block ×15, first 2 shown]
	ds_write_b128 v68, v[56:59]
	ds_write_b128 v68, v[0:3] offset:256
.LBB0_7:
	s_or_b32 exec_lo, exec_lo, s33
	v_mad_u64_u32 v[52:53], null, v255, 48, s[4:5]
	s_load_dwordx4 s[0:3], s[0:1], 0x0
	s_waitcnt lgkmcnt(0)
	s_barrier
	buffer_gl0_inv
	v_mov_b32_e32 v234, v172
	v_lshl_add_u32 v172, v255, 4, v172
	s_clause 0x2
	global_load_dwordx4 v[60:63], v[52:53], off
	global_load_dwordx4 v[56:59], v[52:53], off offset:16
	global_load_dwordx4 v[52:55], v[52:53], off offset:32
	buffer_load_dword v64, off, s[60:63], 0 offset:4 ; 4-byte Folded Reload
	s_waitcnt vmcnt(0)
	v_add_lshl_u32 v173, v64, v255, 4
	ds_read_b128 v[64:67], v173 offset:272
	ds_read_b128 v[68:71], v173 offset:544
	;; [unrolled: 1-line block ×3, first 2 shown]
	ds_read_b128 v[76:79], v173
	s_waitcnt lgkmcnt(3)
	v_mul_f64 v[80:81], v[66:67], v[62:63]
	v_mul_f64 v[82:83], v[64:65], v[62:63]
	s_waitcnt lgkmcnt(2)
	v_mul_f64 v[84:85], v[70:71], v[58:59]
	v_mul_f64 v[86:87], v[68:69], v[58:59]
	;; [unrolled: 3-line block ×3, first 2 shown]
	v_fma_f64 v[64:65], v[64:65], v[60:61], -v[80:81]
	v_fma_f64 v[66:67], v[66:67], v[60:61], v[82:83]
	v_fma_f64 v[68:69], v[68:69], v[56:57], -v[84:85]
	v_fma_f64 v[70:71], v[70:71], v[56:57], v[86:87]
	;; [unrolled: 2-line block ×3, first 2 shown]
	s_waitcnt lgkmcnt(0)
	v_add_f64 v[80:81], v[76:77], -v[68:69]
	v_add_f64 v[82:83], v[78:79], -v[70:71]
	;; [unrolled: 1-line block ×4, first 2 shown]
	v_fma_f64 v[84:85], v[76:77], 2.0, -v[80:81]
	v_fma_f64 v[86:87], v[78:79], 2.0, -v[82:83]
	v_fma_f64 v[64:65], v[64:65], 2.0, -v[70:71]
	v_fma_f64 v[66:67], v[66:67], 2.0, -v[68:69]
	v_add_f64 v[68:69], v[80:81], -v[68:69]
	v_add_f64 v[70:71], v[82:83], v[70:71]
	v_add_f64 v[72:73], v[84:85], -v[64:65]
	v_add_f64 v[74:75], v[86:87], -v[66:67]
	v_fma_f64 v[76:77], v[80:81], 2.0, -v[68:69]
	v_fma_f64 v[78:79], v[82:83], 2.0, -v[70:71]
	;; [unrolled: 1-line block ×4, first 2 shown]
	ds_write_b128 v172, v[68:71] offset:816
	ds_write_b128 v172, v[76:79] offset:272
	ds_write_b128 v172, v[72:75] offset:544
	ds_write_b128 v172, v[64:67]
	s_waitcnt lgkmcnt(0)
	s_barrier
	buffer_gl0_inv
	s_and_saveexec_b32 s8, vcc_lo
	s_cbranch_execz .LBB0_9
; %bb.8:
	s_add_u32 s4, s6, 0x440
	s_addc_u32 s5, s7, 0
	s_clause 0xb
	global_load_dwordx4 v[80:83], v169, s[6:7] offset:1088
	global_load_dwordx4 v[84:87], v169, s[4:5] offset:64
	;; [unrolled: 1-line block ×12, first 2 shown]
	buffer_load_dword v143, off, s[60:63], 0 ; 4-byte Folded Reload
	s_clause 0x1
	global_load_dwordx4 v[133:136], v169, s[4:5] offset:768
	global_load_dwordx4 v[137:140], v169, s[4:5] offset:832
	s_waitcnt vmcnt(2)
	ds_read_b128 v[129:132], v143
	s_waitcnt lgkmcnt(0)
	v_mul_f64 v[141:142], v[131:132], v[82:83]
	v_mul_f64 v[82:83], v[129:130], v[82:83]
	v_fma_f64 v[129:130], v[129:130], v[80:81], -v[141:142]
	v_fma_f64 v[131:132], v[131:132], v[80:81], v[82:83]
	ds_write_b128 v143, v[129:132]
	ds_read_b128 v[80:83], v172 offset:64
	ds_read_b128 v[129:132], v172 offset:128
	s_waitcnt lgkmcnt(1)
	v_mul_f64 v[141:142], v[82:83], v[86:87]
	v_mul_f64 v[86:87], v[80:81], v[86:87]
	s_waitcnt lgkmcnt(0)
	v_mul_f64 v[145:146], v[131:132], v[90:91]
	v_mul_f64 v[90:91], v[129:130], v[90:91]
	v_fma_f64 v[80:81], v[80:81], v[84:85], -v[141:142]
	v_fma_f64 v[82:83], v[82:83], v[84:85], v[86:87]
	ds_read_b128 v[84:87], v172 offset:192
	ds_read_b128 v[141:144], v172 offset:256
	v_fma_f64 v[129:130], v[129:130], v[88:89], -v[145:146]
	v_fma_f64 v[131:132], v[131:132], v[88:89], v[90:91]
	s_waitcnt lgkmcnt(1)
	v_mul_f64 v[147:148], v[86:87], v[94:95]
	v_mul_f64 v[88:89], v[84:85], v[94:95]
	s_waitcnt lgkmcnt(0)
	v_mul_f64 v[145:146], v[143:144], v[98:99]
	v_mul_f64 v[98:99], v[141:142], v[98:99]
	v_fma_f64 v[84:85], v[84:85], v[92:93], -v[147:148]
	v_fma_f64 v[86:87], v[86:87], v[92:93], v[88:89]
	ds_read_b128 v[88:91], v172 offset:320
	ds_read_b128 v[92:95], v172 offset:384
	v_fma_f64 v[141:142], v[141:142], v[96:97], -v[145:146]
	v_fma_f64 v[143:144], v[143:144], v[96:97], v[98:99]
	;; [unrolled: 12-line block ×5, first 2 shown]
	s_waitcnt lgkmcnt(1)
	v_mul_f64 v[147:148], v[114:115], v[127:128]
	v_mul_f64 v[121:122], v[112:113], v[127:128]
	s_waitcnt vmcnt(1) lgkmcnt(0)
	v_mul_f64 v[145:146], v[118:119], v[135:136]
	v_mul_f64 v[135:136], v[116:117], v[135:136]
	v_fma_f64 v[112:113], v[112:113], v[125:126], -v[147:148]
	v_fma_f64 v[114:115], v[114:115], v[125:126], v[121:122]
	ds_read_b128 v[125:128], v172 offset:832
	global_load_dwordx4 v[121:124], v169, s[4:5] offset:896
	v_fma_f64 v[116:117], v[116:117], v[133:134], -v[145:146]
	v_fma_f64 v[118:119], v[118:119], v[133:134], v[135:136]
	ds_read_b128 v[133:136], v172 offset:896
	s_waitcnt vmcnt(1) lgkmcnt(1)
	v_mul_f64 v[145:146], v[127:128], v[139:140]
	v_mul_f64 v[139:140], v[125:126], v[139:140]
	v_fma_f64 v[125:126], v[125:126], v[137:138], -v[145:146]
	v_fma_f64 v[127:128], v[127:128], v[137:138], v[139:140]
	global_load_dwordx4 v[137:140], v169, s[4:5] offset:960
	s_waitcnt vmcnt(1) lgkmcnt(0)
	v_mul_f64 v[145:146], v[135:136], v[123:124]
	v_mul_f64 v[123:124], v[133:134], v[123:124]
	v_fma_f64 v[133:134], v[133:134], v[121:122], -v[145:146]
	v_fma_f64 v[135:136], v[135:136], v[121:122], v[123:124]
	ds_read_b128 v[121:124], v172 offset:960
	ds_read_b128 v[145:148], v172 offset:1024
	s_waitcnt vmcnt(0) lgkmcnt(1)
	v_mul_f64 v[149:150], v[123:124], v[139:140]
	v_mul_f64 v[139:140], v[121:122], v[139:140]
	v_fma_f64 v[121:122], v[121:122], v[137:138], -v[149:150]
	v_fma_f64 v[123:124], v[123:124], v[137:138], v[139:140]
	global_load_dwordx4 v[137:140], v169, s[4:5] offset:1024
	s_waitcnt vmcnt(0) lgkmcnt(0)
	v_mul_f64 v[149:150], v[147:148], v[139:140]
	v_mul_f64 v[139:140], v[145:146], v[139:140]
	v_fma_f64 v[145:146], v[145:146], v[137:138], -v[149:150]
	v_fma_f64 v[147:148], v[147:148], v[137:138], v[139:140]
	ds_write_b128 v172, v[80:83] offset:64
	ds_write_b128 v172, v[129:132] offset:128
	;; [unrolled: 1-line block ×16, first 2 shown]
.LBB0_9:
	s_or_b32 exec_lo, exec_lo, s8
	s_waitcnt lgkmcnt(0)
	s_barrier
	buffer_gl0_inv
	s_and_saveexec_b32 s4, vcc_lo
	s_cbranch_execz .LBB0_11
; %bb.10:
	buffer_load_dword v0, off, s[60:63], 0  ; 4-byte Folded Reload
	s_waitcnt vmcnt(0)
	ds_read_b128 v[64:67], v0
	ds_read_b128 v[76:79], v172 offset:64
	ds_read_b128 v[72:75], v172 offset:128
	;; [unrolled: 1-line block ×16, first 2 shown]
.LBB0_11:
	s_or_b32 exec_lo, exec_lo, s4
	s_waitcnt lgkmcnt(0)
	s_barrier
	buffer_gl0_inv
	s_and_saveexec_b32 s33, vcc_lo
	s_cbranch_execz .LBB0_13
; %bb.12:
	v_add_f64 v[135:136], v[78:79], -v[2:3]
	v_add_f64 v[114:115], v[76:77], -v[0:1]
	s_mov_b32 s4, 0xacd6c6b4
	s_mov_b32 s5, 0xbfc7851a
	v_add_f64 v[129:130], v[74:75], -v[6:7]
	v_add_f64 v[121:122], v[0:1], v[76:77]
	s_mov_b32 s14, 0x4363dd80
	s_mov_b32 s15, 0xbfe0d888
	v_add_f64 v[131:132], v[72:73], -v[4:5]
	v_add_f64 v[123:124], v[2:3], v[78:79]
	s_mov_b32 s8, 0x5d8e7cdc
	s_mov_b32 s22, 0x7faef3
	;; [unrolled: 1-line block ×4, first 2 shown]
	v_add_f64 v[127:128], v[70:71], -v[10:11]
	v_add_f64 v[118:119], v[4:5], v[72:73]
	s_mov_b32 s18, 0x7c9e640b
	s_mov_b32 s26, 0x910ea3b9
	;; [unrolled: 1-line block ×4, first 2 shown]
	v_add_f64 v[125:126], v[68:69], -v[8:9]
	v_add_f64 v[116:117], v[6:7], v[74:75]
	v_mul_f64 v[82:83], v[135:136], s[4:5]
	v_mul_f64 v[80:81], v[114:115], s[4:5]
	;; [unrolled: 1-line block ×3, first 2 shown]
	s_mov_b32 s24, 0x370991
	v_mul_f64 v[88:89], v[129:130], s[8:9]
	s_mov_b32 s25, 0x3fedd6d0
	v_add_f64 v[151:152], v[18:19], -v[14:15]
	v_add_f64 v[147:148], v[68:69], v[8:9]
	v_mul_f64 v[86:87], v[131:132], s[8:9]
	v_mul_f64 v[96:97], v[131:132], s[18:19]
	s_mov_b32 s30, 0xeb564b22
	s_mov_b32 s10, 0x2b2883cd
	;; [unrolled: 1-line block ×4, first 2 shown]
	v_mul_f64 v[100:101], v[127:128], s[14:15]
	s_mov_b32 s45, 0xbfefdd0d
	s_mov_b32 s44, s30
	v_add_f64 v[153:154], v[16:17], -v[12:13]
	v_add_f64 v[143:144], v[70:71], v[10:11]
	v_mul_f64 v[174:175], v[135:136], s[14:15]
	v_mul_f64 v[94:95], v[125:126], s[14:15]
	;; [unrolled: 1-line block ×3, first 2 shown]
	v_fma_f64 v[92:93], v[121:122], s[22:23], -v[82:83]
	v_fma_f64 v[90:91], v[123:124], s[22:23], v[80:81]
	v_fma_f64 v[80:81], v[123:124], s[22:23], -v[80:81]
	v_fma_f64 v[82:83], v[121:122], s[22:23], v[82:83]
	v_fma_f64 v[98:99], v[123:124], s[26:27], v[84:85]
	v_fma_f64 v[145:146], v[118:119], s[24:25], -v[88:89]
	v_fma_f64 v[88:89], v[118:119], s[24:25], v[88:89]
	s_mov_b32 s48, 0x2a9d6da3
	v_fma_f64 v[102:103], v[116:117], s[24:25], v[86:87]
	v_fma_f64 v[86:87], v[116:117], s[24:25], -v[86:87]
	v_fma_f64 v[157:158], v[116:117], s[10:11], v[96:97]
	s_mov_b32 s49, 0x3fe58eea
	v_add_f64 v[149:150], v[20:21], v[24:25]
	v_add_f64 v[141:142], v[16:17], v[12:13]
	v_mul_f64 v[161:162], v[151:152], s[48:49]
	v_fma_f64 v[167:168], v[147:148], s[26:27], -v[100:101]
	s_mov_b32 s20, 0x3259b75e
	s_mov_b32 s28, 0x6c9a05f6
	s_mov_b32 s21, 0x3fb79ee6
	s_mov_b32 s29, 0xbfe9895b
	s_mov_b32 s39, 0x3fe9895b
	s_mov_b32 s38, s28
	v_add_f64 v[92:93], v[64:65], v[92:93]
	v_add_f64 v[90:91], v[66:67], v[90:91]
	v_add_f64 v[80:81], v[66:67], v[80:81]
	v_add_f64 v[82:83], v[64:65], v[82:83]
	v_add_f64 v[98:99], v[66:67], v[98:99]
	v_add_f64 v[137:138], v[24:25], -v[20:21]
	v_add_f64 v[139:140], v[18:19], v[14:15]
	v_mul_f64 v[155:156], v[153:154], s[48:49]
	v_fma_f64 v[163:164], v[143:144], s[26:27], v[94:95]
	v_fma_f64 v[94:95], v[143:144], s[26:27], -v[94:95]
	v_fma_f64 v[100:101], v[147:148], s[26:27], v[100:101]
	s_mov_b32 s36, 0x6ed5f1bb
	s_mov_b32 s50, 0x75d4884
	;; [unrolled: 1-line block ×4, first 2 shown]
	v_add_f64 v[165:166], v[28:29], v[32:33]
	v_add_f64 v[159:160], v[26:27], -v[22:23]
	v_mul_f64 v[178:179], v[149:150], s[36:37]
	v_fma_f64 v[182:183], v[141:142], s[50:51], -v[161:162]
	s_mov_b32 s35, 0xbfd71e95
	s_mov_b32 s34, s8
	v_add_f64 v[112:113], v[32:33], -v[28:29]
	v_add_f64 v[92:93], v[145:146], v[92:93]
	v_add_f64 v[90:91], v[102:103], v[90:91]
	;; [unrolled: 1-line block ×4, first 2 shown]
	v_mul_f64 v[86:87], v[153:154], s[38:39]
	v_mul_f64 v[88:89], v[129:130], s[18:19]
	v_fma_f64 v[102:103], v[143:144], s[20:21], v[170:171]
	v_fma_f64 v[145:146], v[121:122], s[26:27], -v[174:175]
	v_add_f64 v[98:99], v[157:158], v[98:99]
	v_add_f64 v[133:134], v[22:23], v[26:27]
	v_mul_f64 v[176:177], v[137:138], s[28:29]
	v_fma_f64 v[180:181], v[139:140], s[50:51], v[155:156]
	v_fma_f64 v[155:156], v[139:140], s[50:51], -v[155:156]
	v_fma_f64 v[184:185], v[141:142], s[50:51], v[161:162]
	v_add_f64 v[161:162], v[34:35], -v[30:31]
	v_mul_f64 v[192:193], v[165:166], s[10:11]
	v_add_f64 v[110:111], v[36:37], -v[40:41]
	v_fma_f64 v[196:197], v[159:160], s[38:39], v[178:179]
	v_add_f64 v[157:158], v[30:31], v[34:35]
	v_fma_f64 v[178:179], v[159:160], s[28:29], v[178:179]
	v_fma_f64 v[84:85], v[123:124], s[26:27], -v[84:85]
	s_mov_b32 s42, 0xc61f0d01
	v_add_f64 v[92:93], v[167:168], v[92:93]
	v_add_f64 v[90:91], v[163:164], v[90:91]
	;; [unrolled: 1-line block ×4, first 2 shown]
	v_mul_f64 v[94:95], v[137:138], s[34:35]
	v_mul_f64 v[100:101], v[127:128], s[44:45]
	v_fma_f64 v[186:187], v[139:140], s[36:37], v[86:87]
	v_fma_f64 v[188:189], v[118:119], s[10:11], -v[88:89]
	v_add_f64 v[190:191], v[64:65], v[145:146]
	v_add_f64 v[98:99], v[102:103], v[98:99]
	;; [unrolled: 1-line block ×3, first 2 shown]
	v_mul_f64 v[102:103], v[112:113], s[18:19]
	v_fma_f64 v[194:195], v[133:134], s[36:37], v[176:177]
	v_fma_f64 v[176:177], v[133:134], s[36:37], -v[176:177]
	s_mov_b32 s43, 0xbfd183b1
	s_mov_b32 s41, 0xbfeca52d
	;; [unrolled: 1-line block ×3, first 2 shown]
	v_add_f64 v[163:164], v[48:49], v[44:45]
	v_fma_f64 v[202:203], v[161:162], s[40:41], v[192:193]
	s_mov_b32 s16, 0x923c349f
	s_mov_b32 s17, 0xbfeec746
	v_add_f64 v[108:109], v[44:45], -v[48:49]
	v_add_f64 v[92:93], v[182:183], v[92:93]
	v_add_f64 v[90:91], v[180:181], v[90:91]
	;; [unrolled: 1-line block ×4, first 2 shown]
	v_mul_f64 v[180:181], v[112:113], s[4:5]
	v_mul_f64 v[182:183], v[151:152], s[38:39]
	v_fma_f64 v[184:185], v[133:134], s[24:25], v[94:95]
	v_fma_f64 v[198:199], v[147:148], s[20:21], -v[100:101]
	v_add_f64 v[188:189], v[188:189], v[190:191]
	v_add_f64 v[98:99], v[186:187], v[98:99]
	v_add_f64 v[155:156], v[38:39], -v[42:43]
	v_mul_f64 v[190:191], v[167:168], s[42:43]
	v_add_f64 v[106:107], v[42:43], v[38:39]
	v_mul_f64 v[186:187], v[110:111], s[16:17]
	v_fma_f64 v[200:201], v[157:158], s[10:11], v[102:103]
	v_fma_f64 v[102:103], v[157:158], s[10:11], -v[102:103]
	v_fma_f64 v[192:193], v[161:162], s[18:19], v[192:193]
	v_fma_f64 v[96:97], v[116:117], s[10:11], -v[96:97]
	v_add_f64 v[84:85], v[66:67], v[84:85]
	s_mov_b32 s53, 0x3feec746
	s_mov_b32 s52, s16
	v_add_f64 v[145:146], v[46:47], -v[50:51]
	v_add_f64 v[92:93], v[196:197], v[92:93]
	v_add_f64 v[90:91], v[194:195], v[90:91]
	;; [unrolled: 1-line block ×4, first 2 shown]
	v_mul_f64 v[176:177], v[110:111], s[48:49]
	v_mul_f64 v[178:179], v[149:150], s[24:25]
	v_fma_f64 v[194:195], v[157:158], s[22:23], v[180:181]
	v_fma_f64 v[196:197], v[141:142], s[36:37], -v[182:183]
	v_add_f64 v[188:189], v[198:199], v[188:189]
	v_add_f64 v[98:99], v[184:185], v[98:99]
	v_mul_f64 v[198:199], v[163:164], s[20:21]
	v_fma_f64 v[206:207], v[155:156], s[52:53], v[190:191]
	v_add_f64 v[104:105], v[50:51], v[46:47]
	v_mul_f64 v[184:185], v[108:109], s[30:31]
	v_fma_f64 v[204:205], v[106:107], s[42:43], v[186:187]
	v_fma_f64 v[186:187], v[106:107], s[42:43], -v[186:187]
	v_fma_f64 v[190:191], v[155:156], s[16:17], v[190:191]
	v_fma_f64 v[170:171], v[143:144], s[20:21], -v[170:171]
	v_add_f64 v[84:85], v[96:97], v[84:85]
	v_mul_f64 v[96:97], v[165:166], s[22:23]
	v_fma_f64 v[174:175], v[121:122], s[26:27], v[174:175]
	s_mov_b32 s47, 0x3fc7851a
	v_add_f64 v[92:93], v[202:203], v[92:93]
	v_add_f64 v[90:91], v[200:201], v[90:91]
	;; [unrolled: 1-line block ×4, first 2 shown]
	v_mul_f64 v[102:103], v[114:115], s[28:29]
	v_mul_f64 v[192:193], v[108:109], s[16:17]
	;; [unrolled: 1-line block ×3, first 2 shown]
	v_fma_f64 v[202:203], v[106:107], s[50:51], v[176:177]
	v_fma_f64 v[208:209], v[159:160], s[8:9], v[178:179]
	v_add_f64 v[188:189], v[196:197], v[188:189]
	v_add_f64 v[98:99], v[194:195], v[98:99]
	v_fma_f64 v[210:211], v[145:146], s[44:45], v[198:199]
	s_mov_b32 s46, s4
	v_mul_f64 v[194:195], v[131:132], s[52:53]
	v_fma_f64 v[196:197], v[104:105], s[20:21], v[184:185]
	v_fma_f64 v[184:185], v[104:105], s[20:21], -v[184:185]
	v_fma_f64 v[198:199], v[145:146], s[30:31], v[198:199]
	v_mul_f64 v[212:213], v[129:130], s[52:53]
	v_fma_f64 v[214:215], v[139:140], s[36:37], -v[86:87]
	v_add_f64 v[170:171], v[170:171], v[84:85]
	v_fma_f64 v[220:221], v[161:162], s[46:47], v[96:97]
	v_fma_f64 v[88:89], v[118:119], s[10:11], v[88:89]
	v_add_f64 v[92:93], v[206:207], v[92:93]
	v_add_f64 v[90:91], v[204:205], v[90:91]
	v_add_f64 v[186:187], v[186:187], v[80:81]
	v_add_f64 v[190:191], v[190:191], v[82:83]
	v_mul_f64 v[204:205], v[167:168], s[50:51]
	v_fma_f64 v[206:207], v[123:124], s[36:37], v[102:103]
	v_fma_f64 v[216:217], v[121:122], s[36:37], -v[200:201]
	v_fma_f64 v[218:219], v[104:105], s[42:43], v[192:193]
	v_fma_f64 v[102:103], v[123:124], s[36:37], -v[102:103]
	v_add_f64 v[188:189], v[208:209], v[188:189]
	v_add_f64 v[98:99], v[202:203], v[98:99]
	;; [unrolled: 1-line block ×3, first 2 shown]
	v_mul_f64 v[222:223], v[114:115], s[16:17]
	s_mov_b32 s55, 0xbfe58eea
	s_mov_b32 s54, s48
	v_mul_f64 v[208:209], v[125:126], s[34:35]
	v_fma_f64 v[94:95], v[133:134], s[24:25], -v[94:95]
	v_fma_f64 v[224:225], v[116:117], s[42:43], v[194:195]
	v_fma_f64 v[194:195], v[116:117], s[42:43], -v[194:195]
	v_add_f64 v[170:171], v[214:215], v[170:171]
	v_fma_f64 v[100:101], v[147:148], s[20:21], v[100:101]
	s_mov_b32 s57, 0x3fe0d888
	v_add_f64 v[80:81], v[210:211], v[92:93]
	v_fma_f64 v[92:93], v[121:122], s[36:37], v[200:201]
	v_add_f64 v[82:83], v[196:197], v[90:91]
	v_add_f64 v[86:87], v[184:185], v[186:187]
	;; [unrolled: 1-line block ×4, first 2 shown]
	v_mul_f64 v[186:187], v[127:128], s[34:35]
	v_fma_f64 v[190:191], v[118:119], s[42:43], -v[212:213]
	v_add_f64 v[196:197], v[64:65], v[216:217]
	v_fma_f64 v[198:199], v[155:156], s[54:55], v[204:205]
	v_add_f64 v[102:103], v[66:67], v[102:103]
	v_add_f64 v[188:189], v[220:221], v[188:189]
	;; [unrolled: 1-line block ×3, first 2 shown]
	v_fma_f64 v[98:99], v[157:158], s[22:23], -v[180:181]
	v_mul_f64 v[180:181], v[135:136], s[16:17]
	v_add_f64 v[88:89], v[88:89], v[174:175]
	s_mov_b32 s56, s14
	v_fma_f64 v[206:207], v[118:119], s[42:43], v[212:213]
	v_mul_f64 v[210:211], v[131:132], s[56:57]
	v_fma_f64 v[212:213], v[123:124], s[42:43], -v[222:223]
	v_mul_f64 v[174:175], v[153:154], s[14:15]
	v_fma_f64 v[200:201], v[143:144], s[24:25], v[208:209]
	v_mul_f64 v[214:215], v[151:152], s[14:15]
	v_add_f64 v[92:93], v[64:65], v[92:93]
	v_add_f64 v[94:95], v[94:95], v[170:171]
	v_fma_f64 v[182:183], v[141:142], s[36:37], v[182:183]
	v_mul_f64 v[220:221], v[125:126], s[48:49]
	v_add_f64 v[184:185], v[224:225], v[184:185]
	v_fma_f64 v[216:217], v[147:148], s[24:25], -v[186:187]
	v_fma_f64 v[186:187], v[147:148], s[24:25], v[186:187]
	v_add_f64 v[190:191], v[190:191], v[196:197]
	v_fma_f64 v[196:197], v[143:144], s[24:25], -v[208:209]
	v_add_f64 v[102:103], v[194:195], v[102:103]
	v_add_f64 v[188:189], v[198:199], v[188:189]
	v_fma_f64 v[194:195], v[123:124], s[42:43], v[222:223]
	v_mul_f64 v[198:199], v[129:130], s[56:57]
	v_fma_f64 v[208:209], v[121:122], s[42:43], -v[180:181]
	v_add_f64 v[88:89], v[100:101], v[88:89]
	v_mul_f64 v[202:203], v[163:164], s[42:43]
	v_fma_f64 v[100:101], v[106:107], s[50:51], -v[176:177]
	v_fma_f64 v[222:223], v[116:117], s[26:27], -v[210:211]
	v_add_f64 v[212:213], v[66:67], v[212:213]
	v_mul_f64 v[176:177], v[137:138], s[30:31]
	v_fma_f64 v[218:219], v[139:140], s[26:27], v[174:175]
	v_fma_f64 v[174:175], v[139:140], s[26:27], -v[174:175]
	v_add_f64 v[92:93], v[206:207], v[92:93]
	v_fma_f64 v[206:207], v[141:142], s[26:27], -v[214:215]
	v_add_f64 v[94:95], v[98:99], v[94:95]
	v_fma_f64 v[98:99], v[159:160], s[34:35], v[178:179]
	v_add_f64 v[184:185], v[200:201], v[184:185]
	v_mul_f64 v[200:201], v[149:150], s[20:21]
	v_fma_f64 v[178:179], v[116:117], s[26:27], v[210:211]
	v_add_f64 v[190:191], v[216:217], v[190:191]
	v_fma_f64 v[214:215], v[141:142], s[26:27], v[214:215]
	v_add_f64 v[102:103], v[196:197], v[102:103]
	v_mul_f64 v[196:197], v[127:128], s[48:49]
	v_add_f64 v[194:195], v[66:67], v[194:195]
	v_fma_f64 v[210:211], v[118:119], s[26:27], -v[198:199]
	v_add_f64 v[208:209], v[64:65], v[208:209]
	v_add_f64 v[88:89], v[182:183], v[88:89]
	v_mul_f64 v[224:225], v[153:154], s[40:41]
	v_fma_f64 v[226:227], v[143:144], s[50:51], -v[220:221]
	v_fma_f64 v[170:171], v[145:146], s[52:53], v[202:203]
	v_add_f64 v[212:213], v[222:223], v[212:213]
	v_fma_f64 v[182:183], v[104:105], s[42:43], -v[192:193]
	v_mul_f64 v[192:193], v[112:113], s[54:55]
	v_fma_f64 v[216:217], v[133:134], s[20:21], v[176:177]
	v_add_f64 v[92:93], v[186:187], v[92:93]
	v_mul_f64 v[186:187], v[165:166], s[50:51]
	v_add_f64 v[94:95], v[100:101], v[94:95]
	v_fma_f64 v[96:97], v[161:162], s[4:5], v[96:97]
	v_add_f64 v[184:185], v[218:219], v[184:185]
	v_fma_f64 v[218:219], v[159:160], s[44:45], v[200:201]
	v_fma_f64 v[100:101], v[133:134], s[20:21], -v[176:177]
	v_add_f64 v[190:191], v[206:207], v[190:191]
	v_fma_f64 v[200:201], v[159:160], s[30:31], v[200:201]
	v_add_f64 v[102:103], v[174:175], v[102:103]
	v_fma_f64 v[174:175], v[143:144], s[50:51], v[220:221]
	v_add_f64 v[176:177], v[178:179], v[194:195]
	v_mul_f64 v[178:179], v[151:152], s[40:41]
	v_fma_f64 v[194:195], v[147:148], s[50:51], -v[196:197]
	v_add_f64 v[206:207], v[210:211], v[208:209]
	v_add_f64 v[98:99], v[98:99], v[88:89]
	v_mul_f64 v[208:209], v[137:138], s[4:5]
	v_fma_f64 v[210:211], v[139:140], s[10:11], -v[224:225]
	v_add_f64 v[212:213], v[226:227], v[212:213]
	v_add_f64 v[88:89], v[170:171], v[188:189]
	v_mul_f64 v[170:171], v[110:111], s[4:5]
	v_fma_f64 v[188:189], v[157:158], s[50:51], v[192:193]
	v_add_f64 v[92:93], v[214:215], v[92:93]
	v_mul_f64 v[214:215], v[167:168], s[22:23]
	v_add_f64 v[94:95], v[182:183], v[94:95]
	v_fma_f64 v[182:183], v[155:156], s[48:49], v[204:205]
	v_add_f64 v[184:185], v[216:217], v[184:185]
	v_fma_f64 v[216:217], v[161:162], s[48:49], v[186:187]
	v_fma_f64 v[192:193], v[157:158], s[50:51], -v[192:193]
	v_add_f64 v[190:191], v[218:219], v[190:191]
	v_fma_f64 v[180:181], v[121:122], s[42:43], v[180:181]
	v_add_f64 v[100:101], v[100:101], v[102:103]
	v_fma_f64 v[102:103], v[139:140], s[10:11], v[224:225]
	v_add_f64 v[174:175], v[174:175], v[176:177]
	v_mul_f64 v[176:177], v[149:150], s[22:23]
	v_fma_f64 v[204:205], v[141:142], s[10:11], -v[178:179]
	v_add_f64 v[194:195], v[194:195], v[206:207]
	v_add_f64 v[96:97], v[96:97], v[98:99]
	v_fma_f64 v[186:187], v[161:162], s[54:55], v[186:187]
	v_mul_f64 v[218:219], v[112:113], s[30:31]
	v_fma_f64 v[220:221], v[133:134], s[22:23], -v[208:209]
	v_add_f64 v[210:211], v[210:211], v[212:213]
	v_mul_f64 v[98:99], v[108:109], s[18:19]
	v_fma_f64 v[206:207], v[106:107], s[22:23], v[170:171]
	v_add_f64 v[92:93], v[200:201], v[92:93]
	v_fma_f64 v[200:201], v[155:156], s[46:47], v[214:215]
	v_mul_f64 v[212:213], v[114:115], s[44:45]
	v_fma_f64 v[170:171], v[106:107], s[22:23], -v[170:171]
	v_add_f64 v[184:185], v[188:189], v[184:185]
	v_mul_f64 v[188:189], v[163:164], s[10:11]
	v_fma_f64 v[198:199], v[118:119], s[26:27], v[198:199]
	v_add_f64 v[190:191], v[216:217], v[190:191]
	v_add_f64 v[180:181], v[64:65], v[180:181]
	;; [unrolled: 1-line block ×3, first 2 shown]
	v_fma_f64 v[192:193], v[133:134], s[22:23], v[208:209]
	v_add_f64 v[102:103], v[102:103], v[174:175]
	v_mul_f64 v[174:175], v[165:166], s[20:21]
	v_fma_f64 v[208:209], v[159:160], s[46:47], v[176:177]
	v_add_f64 v[194:195], v[204:205], v[194:195]
	v_add_f64 v[96:97], v[182:183], v[96:97]
	v_fma_f64 v[182:183], v[155:156], s[4:5], v[214:215]
	v_mul_f64 v[214:215], v[135:136], s[44:45]
	v_mul_f64 v[204:205], v[110:111], s[34:35]
	v_fma_f64 v[216:217], v[157:158], s[20:21], -v[218:219]
	v_add_f64 v[210:211], v[220:221], v[210:211]
	v_fma_f64 v[202:203], v[145:146], s[16:17], v[202:203]
	v_add_f64 v[92:93], v[186:187], v[92:93]
	v_fma_f64 v[186:187], v[104:105], s[10:11], v[98:99]
	v_fma_f64 v[220:221], v[123:124], s[20:21], v[212:213]
	v_fma_f64 v[222:223], v[104:105], s[10:11], -v[98:99]
	v_add_f64 v[184:185], v[206:207], v[184:185]
	v_fma_f64 v[206:207], v[145:146], s[40:41], v[188:189]
	v_mul_f64 v[226:227], v[129:130], s[4:5]
	v_add_f64 v[190:191], v[200:201], v[190:191]
	v_mul_f64 v[200:201], v[131:132], s[4:5]
	v_add_f64 v[100:101], v[170:171], v[100:101]
	v_fma_f64 v[170:171], v[157:158], s[20:21], v[218:219]
	v_add_f64 v[192:193], v[192:193], v[102:103]
	v_fma_f64 v[224:225], v[161:162], s[44:45], v[174:175]
	v_fma_f64 v[196:197], v[147:148], s[50:51], v[196:197]
	v_add_f64 v[194:195], v[208:209], v[194:195]
	v_mul_f64 v[208:209], v[108:109], s[28:29]
	v_add_f64 v[180:181], v[198:199], v[180:181]
	v_fma_f64 v[228:229], v[121:122], s[20:21], -v[214:215]
	v_fma_f64 v[188:189], v[145:146], s[18:19], v[188:189]
	v_fma_f64 v[198:199], v[106:107], s[24:25], -v[204:205]
	v_add_f64 v[210:211], v[216:217], v[210:211]
	v_mul_f64 v[218:219], v[167:168], s[24:25]
	v_add_f64 v[182:183], v[182:183], v[92:93]
	v_add_f64 v[92:93], v[202:203], v[96:97]
	v_mul_f64 v[216:217], v[127:128], s[52:53]
	v_add_f64 v[78:79], v[66:67], v[78:79]
	v_add_f64 v[98:99], v[186:187], v[184:185]
	v_mul_f64 v[184:185], v[125:126], s[52:53]
	v_fma_f64 v[186:187], v[123:124], s[20:21], -v[212:213]
	v_add_f64 v[212:213], v[66:67], v[220:221]
	v_fma_f64 v[202:203], v[116:117], s[22:23], v[200:201]
	v_add_f64 v[96:97], v[206:207], v[190:191]
	v_add_f64 v[102:103], v[222:223], v[100:101]
	v_fma_f64 v[190:191], v[106:107], s[24:25], v[204:205]
	v_add_f64 v[192:193], v[170:171], v[192:193]
	v_fma_f64 v[220:221], v[118:119], s[22:23], -v[226:227]
	v_add_f64 v[194:195], v[224:225], v[194:195]
	v_mul_f64 v[222:223], v[114:115], s[40:41]
	v_add_f64 v[180:181], v[196:197], v[180:181]
	v_add_f64 v[224:225], v[64:65], v[228:229]
	v_fma_f64 v[196:197], v[104:105], s[36:37], -v[208:209]
	v_fma_f64 v[170:171], v[104:105], s[36:37], v[208:209]
	v_add_f64 v[208:209], v[64:65], v[76:77]
	v_add_f64 v[198:199], v[198:199], v[210:211]
	;; [unrolled: 1-line block ×3, first 2 shown]
	v_fma_f64 v[188:189], v[116:117], s[22:23], -v[200:201]
	v_mul_f64 v[200:201], v[135:136], s[40:41]
	v_fma_f64 v[206:207], v[155:156], s[8:9], v[218:219]
	v_fma_f64 v[178:179], v[141:142], s[10:11], v[178:179]
	v_mul_f64 v[182:183], v[153:154], s[8:9]
	v_add_f64 v[186:187], v[66:67], v[186:187]
	v_fma_f64 v[210:211], v[143:144], s[42:43], v[184:185]
	v_add_f64 v[202:203], v[202:203], v[212:213]
	v_fma_f64 v[214:215], v[121:122], s[20:21], v[214:215]
	v_fma_f64 v[228:229], v[147:148], s[42:43], -v[216:217]
	v_mul_f64 v[230:231], v[131:132], s[28:29]
	v_add_f64 v[190:191], v[190:191], v[192:193]
	v_mul_f64 v[192:193], v[151:152], s[8:9]
	v_add_f64 v[74:75], v[74:75], v[78:79]
	v_fma_f64 v[232:233], v[123:124], s[10:11], v[222:223]
	v_fma_f64 v[176:177], v[159:160], s[4:5], v[176:177]
	v_add_f64 v[220:221], v[220:221], v[224:225]
	v_fma_f64 v[184:185], v[143:144], s[42:43], -v[184:185]
	v_mul_f64 v[78:79], v[149:150], s[10:11]
	v_add_f64 v[72:73], v[72:73], v[208:209]
	v_add_f64 v[76:77], v[196:197], v[198:199]
	v_mul_f64 v[196:197], v[129:130], s[28:29]
	v_fma_f64 v[208:209], v[123:124], s[10:11], -v[222:223]
	v_fma_f64 v[198:199], v[121:122], s[10:11], -v[200:201]
	v_mul_f64 v[222:223], v[125:126], s[46:47]
	v_add_f64 v[178:179], v[178:179], v[180:181]
	v_add_f64 v[180:181], v[206:207], v[194:195]
	v_mul_f64 v[194:195], v[137:138], s[40:41]
	v_add_f64 v[186:187], v[188:189], v[186:187]
	v_fma_f64 v[188:189], v[139:140], s[24:25], v[182:183]
	v_add_f64 v[202:203], v[210:211], v[202:203]
	v_fma_f64 v[210:211], v[118:119], s[22:23], v[226:227]
	;; [unrolled: 2-line block ×3, first 2 shown]
	v_fma_f64 v[206:207], v[141:142], s[24:25], -v[192:193]
	v_add_f64 v[70:71], v[70:71], v[74:75]
	v_add_f64 v[226:227], v[66:67], v[232:233]
	v_fma_f64 v[174:175], v[161:162], s[30:31], v[174:175]
	v_add_f64 v[220:221], v[228:229], v[220:221]
	v_mul_f64 v[228:229], v[127:128], s[46:47]
	v_fma_f64 v[182:183], v[139:140], s[24:25], -v[182:183]
	v_add_f64 v[68:69], v[68:69], v[72:73]
	v_fma_f64 v[72:73], v[159:160], s[18:19], v[78:79]
	v_fma_f64 v[232:233], v[118:119], s[36:37], -v[196:197]
	v_fma_f64 v[74:75], v[116:117], s[36:37], -v[230:231]
	v_add_f64 v[198:199], v[64:65], v[198:199]
	v_add_f64 v[208:209], v[66:67], v[208:209]
	;; [unrolled: 1-line block ×3, first 2 shown]
	v_fma_f64 v[178:179], v[155:156], s[34:35], v[218:219]
	v_mul_f64 v[218:219], v[112:113], s[14:15]
	v_add_f64 v[184:185], v[184:185], v[186:187]
	v_fma_f64 v[186:187], v[133:134], s[10:11], v[194:195]
	v_add_f64 v[188:189], v[188:189], v[202:203]
	v_mul_f64 v[202:203], v[165:166], s[26:27]
	v_fma_f64 v[216:217], v[147:148], s[42:43], v[216:217]
	v_add_f64 v[210:211], v[210:211], v[214:215]
	v_mul_f64 v[214:215], v[153:154], s[52:53]
	v_fma_f64 v[230:231], v[143:144], s[22:23], v[222:223]
	v_add_f64 v[224:225], v[224:225], v[226:227]
	v_add_f64 v[18:19], v[18:19], v[70:71]
	;; [unrolled: 1-line block ×3, first 2 shown]
	v_fma_f64 v[200:201], v[121:122], s[10:11], v[200:201]
	v_mul_f64 v[220:221], v[151:152], s[52:53]
	v_add_f64 v[16:17], v[16:17], v[68:69]
	v_fma_f64 v[226:227], v[147:148], s[22:23], -v[228:229]
	v_fma_f64 v[194:195], v[133:134], s[10:11], -v[194:195]
	;; [unrolled: 1-line block ×3, first 2 shown]
	v_add_f64 v[198:199], v[232:233], v[198:199]
	v_add_f64 v[74:75], v[74:75], v[208:209]
	;; [unrolled: 1-line block ×3, first 2 shown]
	v_mul_f64 v[176:177], v[110:111], s[38:39]
	v_fma_f64 v[192:193], v[141:142], s[24:25], v[192:193]
	v_add_f64 v[182:183], v[182:183], v[184:185]
	v_fma_f64 v[184:185], v[157:158], s[26:27], v[218:219]
	v_add_f64 v[186:187], v[186:187], v[188:189]
	v_mul_f64 v[188:189], v[167:168], s[36:37]
	v_fma_f64 v[68:69], v[161:162], s[56:57], v[202:203]
	v_add_f64 v[208:209], v[216:217], v[210:211]
	v_mul_f64 v[210:211], v[137:138], s[48:49]
	v_fma_f64 v[216:217], v[139:140], s[42:43], v[214:215]
	v_add_f64 v[222:223], v[230:231], v[224:225]
	v_add_f64 v[18:19], v[26:27], v[18:19]
	;; [unrolled: 1-line block ×3, first 2 shown]
	v_mul_f64 v[204:205], v[163:164], s[36:37]
	v_fma_f64 v[196:197], v[118:119], s[36:37], v[196:197]
	v_add_f64 v[16:17], v[24:25], v[16:17]
	v_add_f64 v[200:201], v[64:65], v[200:201]
	v_mul_f64 v[224:225], v[149:150], s[50:51]
	v_fma_f64 v[230:231], v[141:142], s[42:43], -v[220:221]
	v_add_f64 v[198:199], v[226:227], v[198:199]
	v_fma_f64 v[218:219], v[157:158], s[26:27], -v[218:219]
	v_fma_f64 v[26:27], v[139:140], s[42:43], -v[214:215]
	v_add_f64 v[70:71], v[70:71], v[74:75]
	v_fma_f64 v[74:75], v[159:160], s[40:41], v[78:79]
	v_add_f64 v[182:183], v[194:195], v[182:183]
	v_fma_f64 v[194:195], v[106:107], s[36:37], v[176:177]
	;; [unrolled: 2-line block ×3, first 2 shown]
	v_mul_f64 v[206:207], v[108:109], s[48:49]
	v_add_f64 v[78:79], v[192:193], v[208:209]
	v_mul_f64 v[192:193], v[112:113], s[34:35]
	v_fma_f64 v[208:209], v[133:134], s[50:51], v[210:211]
	v_add_f64 v[214:215], v[216:217], v[222:223]
	v_add_f64 v[18:19], v[34:35], v[18:19]
	;; [unrolled: 1-line block ×3, first 2 shown]
	v_fma_f64 v[212:213], v[145:146], s[38:39], v[204:205]
	v_fma_f64 v[72:73], v[145:146], s[28:29], v[204:205]
	v_add_f64 v[16:17], v[32:33], v[16:17]
	v_fma_f64 v[204:205], v[147:148], s[22:23], v[228:229]
	v_add_f64 v[196:197], v[196:197], v[200:201]
	v_mul_f64 v[200:201], v[165:166], s[24:25]
	v_fma_f64 v[216:217], v[159:160], s[54:55], v[224:225]
	v_add_f64 v[198:199], v[230:231], v[198:199]
	v_mul_f64 v[186:187], v[163:164], s[50:51]
	v_fma_f64 v[176:177], v[106:107], s[36:37], -v[176:177]
	v_fma_f64 v[34:35], v[133:134], s[50:51], -v[210:211]
	v_add_f64 v[182:183], v[218:219], v[182:183]
	v_add_f64 v[26:27], v[26:27], v[70:71]
	;; [unrolled: 1-line block ×3, first 2 shown]
	v_fma_f64 v[70:71], v[161:162], s[14:15], v[202:203]
	v_add_f64 v[174:175], v[178:179], v[174:175]
	v_fma_f64 v[178:179], v[104:105], s[50:51], v[206:207]
	v_fma_f64 v[194:195], v[157:158], s[24:25], v[192:193]
	v_add_f64 v[74:75], v[74:75], v[78:79]
	v_add_f64 v[202:203], v[208:209], v[214:215]
	;; [unrolled: 1-line block ×4, first 2 shown]
	v_mul_f64 v[24:25], v[114:115], s[54:55]
	v_fma_f64 v[208:209], v[141:142], s[42:43], v[220:221]
	v_add_f64 v[16:17], v[36:37], v[16:17]
	v_mul_f64 v[114:115], v[114:115], s[34:35]
	v_add_f64 v[196:197], v[204:205], v[196:197]
	v_fma_f64 v[210:211], v[161:162], s[8:9], v[200:201]
	v_mul_f64 v[36:37], v[135:136], s[34:35]
	v_add_f64 v[198:199], v[216:217], v[198:199]
	v_mul_f64 v[38:39], v[135:136], s[54:55]
	v_fma_f64 v[32:33], v[145:146], s[54:55], v[186:187]
	v_fma_f64 v[204:205], v[104:105], s[50:51], -v[206:207]
	v_mul_f64 v[206:207], v[167:168], s[20:21]
	v_add_f64 v[176:177], v[176:177], v[182:183]
	v_fma_f64 v[182:183], v[145:146], s[48:49], v[186:187]
	v_fma_f64 v[186:187], v[157:158], s[24:25], -v[192:193]
	v_add_f64 v[26:27], v[34:35], v[26:27]
	v_fma_f64 v[34:35], v[155:156], s[38:39], v[188:189]
	v_mul_f64 v[192:193], v[131:132], s[44:45]
	v_mul_f64 v[131:132], v[131:132], s[54:55]
	v_add_f64 v[188:189], v[194:195], v[202:203]
	v_add_f64 v[18:19], v[46:47], v[18:19]
	v_fma_f64 v[202:203], v[159:160], s[48:49], v[224:225]
	v_fma_f64 v[194:195], v[123:124], s[50:51], -v[24:25]
	v_fma_f64 v[24:25], v[123:124], s[50:51], v[24:25]
	v_add_f64 v[16:17], v[44:45], v[16:17]
	v_mul_f64 v[220:221], v[127:128], s[28:29]
	v_add_f64 v[196:197], v[208:209], v[196:197]
	v_mul_f64 v[208:209], v[129:130], s[44:45]
	v_mul_f64 v[129:130], v[129:130], s[54:55]
	v_add_f64 v[198:199], v[210:211], v[198:199]
	v_fma_f64 v[210:211], v[123:124], s[24:25], -v[114:115]
	v_fma_f64 v[44:45], v[121:122], s[24:25], v[36:37]
	v_fma_f64 v[46:47], v[121:122], s[50:51], v[38:39]
	v_fma_f64 v[38:39], v[121:122], s[50:51], -v[38:39]
	v_fma_f64 v[216:217], v[155:156], s[30:31], v[206:207]
	v_fma_f64 v[114:115], v[123:124], s[24:25], v[114:115]
	v_fma_f64 v[36:37], v[121:122], s[24:25], -v[36:37]
	v_add_f64 v[26:27], v[186:187], v[26:27]
	v_fma_f64 v[186:187], v[155:156], s[44:45], v[206:207]
	v_mul_f64 v[206:207], v[125:126], s[28:29]
	v_fma_f64 v[218:219], v[116:117], s[20:21], -v[192:193]
	v_mul_f64 v[123:124], v[125:126], s[40:41]
	v_add_f64 v[18:19], v[50:51], v[18:19]
	v_mul_f64 v[121:122], v[127:128], s[40:41]
	v_add_f64 v[194:195], v[66:67], v[194:195]
	v_fma_f64 v[125:126], v[116:117], s[50:51], -v[131:132]
	v_add_f64 v[16:17], v[48:49], v[16:17]
	v_fma_f64 v[50:51], v[116:117], s[20:21], v[192:193]
	v_add_f64 v[196:197], v[202:203], v[196:197]
	v_fma_f64 v[202:203], v[118:119], s[20:21], v[208:209]
	v_add_f64 v[24:25], v[66:67], v[24:25]
	v_fma_f64 v[208:209], v[118:119], s[20:21], -v[208:209]
	v_add_f64 v[127:128], v[66:67], v[210:211]
	v_fma_f64 v[210:211], v[118:119], s[50:51], v[129:130]
	v_add_f64 v[44:45], v[64:65], v[44:45]
	v_add_f64 v[46:47], v[64:65], v[46:47]
	;; [unrolled: 1-line block ×3, first 2 shown]
	v_mul_f64 v[48:49], v[153:154], s[4:5]
	v_fma_f64 v[116:117], v[116:117], s[50:51], v[131:132]
	v_add_f64 v[66:67], v[66:67], v[114:115]
	v_fma_f64 v[114:115], v[118:119], s[50:51], -v[129:130]
	v_fma_f64 v[222:223], v[143:144], s[36:37], -v[206:207]
	v_add_f64 v[36:37], v[64:65], v[36:37]
	v_mul_f64 v[153:154], v[153:154], s[44:45]
	v_add_f64 v[18:19], v[42:43], v[18:19]
	v_mul_f64 v[64:65], v[151:152], s[44:45]
	v_add_f64 v[194:195], v[218:219], v[194:195]
	v_fma_f64 v[118:119], v[143:144], s[10:11], -v[123:124]
	v_add_f64 v[16:17], v[40:41], v[16:17]
	v_mul_f64 v[192:193], v[151:152], s[4:5]
	v_fma_f64 v[218:219], v[147:148], s[36:37], v[220:221]
	v_fma_f64 v[129:130], v[147:148], s[36:37], -v[220:221]
	v_add_f64 v[24:25], v[50:51], v[24:25]
	v_fma_f64 v[123:124], v[143:144], s[10:11], v[123:124]
	v_add_f64 v[125:126], v[125:126], v[127:128]
	v_fma_f64 v[127:128], v[147:148], s[10:11], v[121:122]
	v_add_f64 v[40:41], v[210:211], v[44:45]
	v_add_f64 v[42:43], v[202:203], v[46:47]
	v_fma_f64 v[46:47], v[143:144], s[36:37], v[206:207]
	v_add_f64 v[38:39], v[208:209], v[38:39]
	v_mul_f64 v[44:45], v[137:138], s[56:57]
	v_fma_f64 v[131:132], v[139:140], s[22:23], -v[48:49]
	v_add_f64 v[66:67], v[116:117], v[66:67]
	v_fma_f64 v[116:117], v[147:148], s[10:11], -v[121:122]
	v_add_f64 v[36:37], v[114:115], v[36:37]
	v_mul_f64 v[137:138], v[137:138], s[16:17]
	v_add_f64 v[18:19], v[30:31], v[18:19]
	v_mul_f64 v[114:115], v[149:150], s[42:43]
	v_add_f64 v[151:152], v[222:223], v[194:195]
	v_fma_f64 v[121:122], v[139:140], s[20:21], -v[153:154]
	v_add_f64 v[16:17], v[28:29], v[16:17]
	v_mul_f64 v[50:51], v[149:150], s[26:27]
	v_fma_f64 v[194:195], v[141:142], s[22:23], v[192:193]
	v_mul_f64 v[78:79], v[110:111], s[44:45]
	v_fma_f64 v[200:201], v[161:162], s[34:35], v[200:201]
	v_add_f64 v[70:71], v[70:71], v[74:75]
	v_add_f64 v[118:119], v[118:119], v[125:126]
	v_fma_f64 v[125:126], v[141:142], s[20:21], v[64:65]
	v_add_f64 v[28:29], v[127:128], v[40:41]
	v_add_f64 v[30:31], v[218:219], v[42:43]
	v_fma_f64 v[42:43], v[139:140], s[22:23], v[48:49]
	v_add_f64 v[24:25], v[46:47], v[24:25]
	v_fma_f64 v[48:49], v[141:142], s[22:23], -v[192:193]
	v_add_f64 v[38:39], v[129:130], v[38:39]
	v_mul_f64 v[40:41], v[112:113], s[52:53]
	v_fma_f64 v[127:128], v[133:134], s[26:27], -v[44:45]
	v_fma_f64 v[139:140], v[139:140], s[20:21], v[153:154]
	v_add_f64 v[66:67], v[123:124], v[66:67]
	v_fma_f64 v[64:65], v[141:142], s[20:21], -v[64:65]
	v_add_f64 v[36:37], v[116:117], v[36:37]
	v_add_f64 v[129:130], v[131:132], v[151:152]
	;; [unrolled: 1-line block ×4, first 2 shown]
	v_mul_f64 v[112:113], v[112:113], s[28:29]
	v_mul_f64 v[116:117], v[165:166], s[36:37]
	v_fma_f64 v[123:124], v[133:134], s[42:43], -v[137:138]
	v_mul_f64 v[46:47], v[165:166], s[42:43]
	v_fma_f64 v[131:132], v[159:160], s[56:57], v[50:51]
	v_add_f64 v[118:119], v[121:122], v[118:119]
	v_fma_f64 v[121:122], v[159:160], s[16:17], v[114:115]
	v_add_f64 v[20:21], v[125:126], v[28:29]
	v_add_f64 v[22:23], v[194:195], v[30:31]
	v_fma_f64 v[30:31], v[133:134], s[26:27], v[44:45]
	v_add_f64 v[24:25], v[42:43], v[24:25]
	v_fma_f64 v[44:45], v[159:160], s[14:15], v[50:51]
	v_add_f64 v[38:39], v[48:49], v[38:39]
	v_mul_f64 v[28:29], v[110:111], s[18:19]
	v_fma_f64 v[48:49], v[157:158], s[42:43], -v[40:41]
	v_fma_f64 v[114:115], v[159:160], s[52:53], v[114:115]
	v_add_f64 v[66:67], v[139:140], v[66:67]
	v_mul_f64 v[110:111], v[110:111], s[14:15]
	v_add_f64 v[36:37], v[64:65], v[36:37]
	v_add_f64 v[50:51], v[127:128], v[129:130]
	v_fma_f64 v[127:128], v[133:134], s[42:43], v[137:138]
	v_add_f64 v[14:15], v[14:15], v[18:19]
	v_add_f64 v[12:13], v[12:13], v[16:17]
	v_mul_f64 v[64:65], v[167:168], s[26:27]
	v_fma_f64 v[129:130], v[157:158], s[36:37], -v[112:113]
	v_mul_f64 v[42:43], v[167:168], s[10:11]
	v_fma_f64 v[125:126], v[161:162], s[52:53], v[46:47]
	v_add_f64 v[118:119], v[123:124], v[118:119]
	v_fma_f64 v[123:124], v[161:162], s[28:29], v[116:117]
	v_add_f64 v[16:17], v[121:122], v[20:21]
	v_add_f64 v[18:19], v[131:132], v[22:23]
	v_fma_f64 v[22:23], v[157:158], s[42:43], v[40:41]
	v_add_f64 v[24:25], v[30:31], v[24:25]
	v_fma_f64 v[40:41], v[161:162], s[16:17], v[46:47]
	v_add_f64 v[38:39], v[44:45], v[38:39]
	v_mul_f64 v[74:75], v[108:109], s[14:15]
	v_mul_f64 v[20:21], v[108:109], s[8:9]
	v_fma_f64 v[44:45], v[106:107], s[10:11], -v[28:29]
	v_fma_f64 v[135:136], v[106:107], s[20:21], v[78:79]
	v_fma_f64 v[78:79], v[106:107], s[20:21], -v[78:79]
	v_add_f64 v[36:37], v[114:115], v[36:37]
	v_add_f64 v[46:47], v[48:49], v[50:51]
	v_mul_f64 v[50:51], v[108:109], s[4:5]
	v_fma_f64 v[108:109], v[157:158], s[36:37], v[112:113]
	v_add_f64 v[66:67], v[127:128], v[66:67]
	v_fma_f64 v[112:113], v[161:162], s[38:39], v[116:117]
	v_add_f64 v[10:11], v[10:11], v[14:15]
	v_add_f64 v[8:9], v[8:9], v[12:13]
	v_mul_f64 v[114:115], v[163:164], s[22:23]
	v_fma_f64 v[116:117], v[106:107], s[26:27], -v[110:111]
	v_add_f64 v[118:119], v[129:130], v[118:119]
	v_fma_f64 v[121:122], v[155:156], s[14:15], v[64:65]
	v_add_f64 v[12:13], v[123:124], v[16:17]
	v_mul_f64 v[30:31], v[163:164], s[24:25]
	v_fma_f64 v[48:49], v[155:156], s[18:19], v[42:43]
	v_add_f64 v[14:15], v[125:126], v[18:19]
	v_mul_f64 v[214:215], v[163:164], s[26:27]
	v_add_f64 v[16:17], v[200:201], v[196:197]
	v_fma_f64 v[28:29], v[106:107], s[10:11], v[28:29]
	v_add_f64 v[22:23], v[22:23], v[24:25]
	v_fma_f64 v[24:25], v[155:156], s[40:41], v[42:43]
	;; [unrolled: 2-line block ×4, first 2 shown]
	v_fma_f64 v[18:19], v[104:105], s[26:27], -v[74:75]
	v_add_f64 v[46:47], v[108:109], v[66:67]
	v_add_f64 v[36:37], v[112:113], v[36:37]
	v_add_f64 v[26:27], v[78:79], v[26:27]
	v_add_f64 v[6:7], v[6:7], v[10:11]
	v_add_f64 v[10:11], v[4:5], v[8:9]
	v_fma_f64 v[106:107], v[104:105], s[22:23], -v[50:51]
	v_add_f64 v[108:109], v[116:117], v[118:119]
	v_fma_f64 v[110:111], v[145:146], s[4:5], v[114:115]
	v_add_f64 v[112:113], v[121:122], v[12:13]
	v_fma_f64 v[40:41], v[104:105], s[24:25], -v[20:21]
	v_fma_f64 v[66:67], v[145:146], s[8:9], v[30:31]
	v_add_f64 v[48:49], v[48:49], v[14:15]
	v_fma_f64 v[78:79], v[145:146], s[14:15], v[214:215]
	v_add_f64 v[116:117], v[186:187], v[16:17]
	v_add_f64 v[34:35], v[34:35], v[70:71]
	v_fma_f64 v[70:71], v[104:105], s[26:27], v[74:75]
	v_add_f64 v[118:119], v[135:136], v[188:189]
	v_fma_f64 v[121:122], v[145:146], s[56:57], v[214:215]
	;; [unrolled: 2-line block ×6, first 2 shown]
	v_add_f64 v[64:65], v[64:65], v[36:37]
	v_add_f64 v[8:9], v[18:19], v[26:27]
	;; [unrolled: 1-line block ×14, first 2 shown]
	v_and_b32_e32 v0, 0xffff, v245
	v_add_f64 v[28:29], v[178:179], v[184:185]
	v_add_f64 v[26:27], v[32:33], v[68:69]
	;; [unrolled: 1-line block ×8, first 2 shown]
	v_lshl_add_u32 v0, v0, 4, v234
	ds_write_b128 v0, v[18:21]
	ds_write_b128 v0, v[14:17] offset:16
	ds_write_b128 v0, v[10:13] offset:32
	;; [unrolled: 1-line block ×16, first 2 shown]
.LBB0_13:
	s_or_b32 exec_lo, exec_lo, s33
	s_waitcnt lgkmcnt(0)
	s_barrier
	buffer_gl0_inv
	ds_read_b128 v[0:3], v173 offset:272
	ds_read_b128 v[4:7], v173 offset:544
	ds_read_b128 v[8:11], v173 offset:816
	ds_read_b128 v[12:15], v173
	s_waitcnt lgkmcnt(3)
	v_mul_f64 v[16:17], v[62:63], v[2:3]
	v_mul_f64 v[18:19], v[62:63], v[0:1]
	s_waitcnt lgkmcnt(2)
	v_mul_f64 v[20:21], v[58:59], v[6:7]
	v_mul_f64 v[22:23], v[58:59], v[4:5]
	;; [unrolled: 3-line block ×3, first 2 shown]
	v_fma_f64 v[0:1], v[60:61], v[0:1], v[16:17]
	v_fma_f64 v[2:3], v[60:61], v[2:3], -v[18:19]
	v_fma_f64 v[4:5], v[56:57], v[4:5], v[20:21]
	v_fma_f64 v[6:7], v[56:57], v[6:7], -v[22:23]
	;; [unrolled: 2-line block ×3, first 2 shown]
	s_waitcnt lgkmcnt(0)
	v_add_f64 v[16:17], v[12:13], -v[4:5]
	v_add_f64 v[18:19], v[14:15], -v[6:7]
	;; [unrolled: 1-line block ×4, first 2 shown]
	v_fma_f64 v[12:13], v[12:13], 2.0, -v[16:17]
	v_fma_f64 v[14:15], v[14:15], 2.0, -v[18:19]
	;; [unrolled: 1-line block ×4, first 2 shown]
	v_add_f64 v[0:1], v[16:17], v[6:7]
	v_add_f64 v[2:3], v[18:19], -v[4:5]
	v_add_f64 v[4:5], v[12:13], -v[8:9]
	;; [unrolled: 1-line block ×3, first 2 shown]
	v_fma_f64 v[8:9], v[16:17], 2.0, -v[0:1]
	v_fma_f64 v[10:11], v[18:19], 2.0, -v[2:3]
	;; [unrolled: 1-line block ×4, first 2 shown]
	ds_write_b128 v172, v[0:3] offset:816
	ds_write_b128 v172, v[8:11] offset:272
	;; [unrolled: 1-line block ×3, first 2 shown]
	ds_write_b128 v172, v[12:15]
	s_waitcnt lgkmcnt(0)
	s_barrier
	buffer_gl0_inv
	s_and_b32 exec_lo, exec_lo, vcc_lo
	s_cbranch_execz .LBB0_15
; %bb.14:
	buffer_load_dword v4, off, s[60:63], 0  ; 4-byte Folded Reload
	global_load_dwordx4 v[0:3], v169, s[6:7]
	v_mad_u64_u32 v[10:11], null, s2, v120, 0
	s_waitcnt vmcnt(1)
	ds_read_b128 v[4:7], v4
	s_waitcnt vmcnt(0) lgkmcnt(0)
	v_mul_f64 v[8:9], v[6:7], v[2:3]
	v_mul_f64 v[2:3], v[4:5], v[2:3]
	v_fma_f64 v[4:5], v[4:5], v[0:1], v[8:9]
	v_fma_f64 v[0:1], v[0:1], v[6:7], -v[2:3]
	v_mad_u64_u32 v[6:7], null, s0, v255, 0
	v_mov_b32_e32 v2, v11
	v_mov_b32_e32 v3, v7
	v_mad_u64_u32 v[7:8], null, s3, v120, v[2:3]
	s_mov_b32 s2, 0x1e1e1e1e
	s_mov_b32 s3, 0x3f8e1e1e
	v_mad_u64_u32 v[8:9], null, s1, v255, v[3:4]
	v_mov_b32_e32 v11, v7
	v_mul_f64 v[2:3], v[4:5], s[2:3]
	v_mul_f64 v[4:5], v[0:1], s[2:3]
	v_lshlrev_b64 v[0:1], 4, v[10:11]
	v_mov_b32_e32 v7, v8
	v_add_co_u32 v0, vcc_lo, s12, v0
	v_lshlrev_b64 v[6:7], 4, v[6:7]
	v_add_co_ci_u32_e32 v1, vcc_lo, s13, v1, vcc_lo
	v_add_co_u32 v6, vcc_lo, v0, v6
	v_add_co_ci_u32_e32 v7, vcc_lo, v1, v7, vcc_lo
	global_store_dwordx4 v[6:7], v[2:5], off
	global_load_dwordx4 v[2:5], v169, s[6:7] offset:64
	ds_read_b128 v[6:9], v172 offset:64
	ds_read_b128 v[10:13], v172 offset:128
	s_waitcnt vmcnt(0) lgkmcnt(1)
	v_mul_f64 v[14:15], v[8:9], v[4:5]
	v_mul_f64 v[4:5], v[6:7], v[4:5]
	v_fma_f64 v[6:7], v[6:7], v[2:3], v[14:15]
	v_fma_f64 v[4:5], v[2:3], v[8:9], -v[4:5]
	v_or_b32_e32 v3, 4, v255
	v_mad_u64_u32 v[8:9], null, s0, v3, 0
	v_mov_b32_e32 v2, v9
	v_mad_u64_u32 v[14:15], null, s1, v3, v[2:3]
	v_mul_f64 v[2:3], v[6:7], s[2:3]
	v_mul_f64 v[4:5], v[4:5], s[2:3]
	v_mov_b32_e32 v9, v14
	v_lshlrev_b64 v[6:7], 4, v[8:9]
	v_add_co_u32 v6, vcc_lo, v0, v6
	v_add_co_ci_u32_e32 v7, vcc_lo, v1, v7, vcc_lo
	global_store_dwordx4 v[6:7], v[2:5], off
	global_load_dwordx4 v[2:5], v169, s[6:7] offset:128
	s_waitcnt vmcnt(0) lgkmcnt(0)
	v_mul_f64 v[6:7], v[12:13], v[4:5]
	v_mul_f64 v[4:5], v[10:11], v[4:5]
	v_fma_f64 v[6:7], v[10:11], v[2:3], v[6:7]
	v_fma_f64 v[4:5], v[2:3], v[12:13], -v[4:5]
	v_or_b32_e32 v3, 8, v255
	v_mad_u64_u32 v[8:9], null, s0, v3, 0
	v_mov_b32_e32 v2, v9
	v_mad_u64_u32 v[9:10], null, s1, v3, v[2:3]
	v_mul_f64 v[2:3], v[6:7], s[2:3]
	v_mul_f64 v[4:5], v[4:5], s[2:3]
	v_lshlrev_b64 v[6:7], 4, v[8:9]
	v_add_co_u32 v6, vcc_lo, v0, v6
	v_add_co_ci_u32_e32 v7, vcc_lo, v1, v7, vcc_lo
	global_store_dwordx4 v[6:7], v[2:5], off
	global_load_dwordx4 v[2:5], v169, s[6:7] offset:192
	ds_read_b128 v[6:9], v172 offset:192
	ds_read_b128 v[10:13], v172 offset:256
	s_waitcnt vmcnt(0) lgkmcnt(1)
	v_mul_f64 v[14:15], v[8:9], v[4:5]
	v_mul_f64 v[4:5], v[6:7], v[4:5]
	v_fma_f64 v[6:7], v[6:7], v[2:3], v[14:15]
	v_fma_f64 v[4:5], v[2:3], v[8:9], -v[4:5]
	v_or_b32_e32 v3, 12, v255
	v_mad_u64_u32 v[8:9], null, s0, v3, 0
	v_mov_b32_e32 v2, v9
	v_mad_u64_u32 v[14:15], null, s1, v3, v[2:3]
	v_mul_f64 v[2:3], v[6:7], s[2:3]
	v_mul_f64 v[4:5], v[4:5], s[2:3]
	v_mov_b32_e32 v9, v14
	v_lshlrev_b64 v[6:7], 4, v[8:9]
	v_add_co_u32 v6, vcc_lo, v0, v6
	v_add_co_ci_u32_e32 v7, vcc_lo, v1, v7, vcc_lo
	global_store_dwordx4 v[6:7], v[2:5], off
	global_load_dwordx4 v[2:5], v169, s[6:7] offset:256
	s_waitcnt vmcnt(0) lgkmcnt(0)
	v_mul_f64 v[6:7], v[12:13], v[4:5]
	v_mul_f64 v[4:5], v[10:11], v[4:5]
	v_fma_f64 v[6:7], v[10:11], v[2:3], v[6:7]
	v_fma_f64 v[4:5], v[2:3], v[12:13], -v[4:5]
	v_or_b32_e32 v3, 16, v255
	v_mad_u64_u32 v[8:9], null, s0, v3, 0
	v_mov_b32_e32 v2, v9
	v_mad_u64_u32 v[9:10], null, s1, v3, v[2:3]
	v_mul_f64 v[2:3], v[6:7], s[2:3]
	v_mul_f64 v[4:5], v[4:5], s[2:3]
	v_lshlrev_b64 v[6:7], 4, v[8:9]
	;; [unrolled: 35-line block ×6, first 2 shown]
	v_add_co_u32 v6, vcc_lo, v0, v6
	v_add_co_ci_u32_e32 v7, vcc_lo, v1, v7, vcc_lo
	global_store_dwordx4 v[6:7], v[2:5], off
	global_load_dwordx4 v[2:5], v169, s[6:7] offset:832
	ds_read_b128 v[6:9], v172 offset:832
	ds_read_b128 v[10:13], v172 offset:896
	s_waitcnt vmcnt(0) lgkmcnt(1)
	v_mul_f64 v[14:15], v[8:9], v[4:5]
	v_mul_f64 v[4:5], v[6:7], v[4:5]
	v_fma_f64 v[6:7], v[6:7], v[2:3], v[14:15]
	v_fma_f64 v[4:5], v[2:3], v[8:9], -v[4:5]
	v_or_b32_e32 v3, 52, v255
	v_mad_u64_u32 v[8:9], null, s0, v3, 0
	v_mov_b32_e32 v2, v9
	v_mad_u64_u32 v[14:15], null, s1, v3, v[2:3]
	v_mul_f64 v[2:3], v[6:7], s[2:3]
	v_mul_f64 v[4:5], v[4:5], s[2:3]
	v_mov_b32_e32 v9, v14
	v_or_b32_e32 v14, 56, v255
	v_lshlrev_b64 v[6:7], 4, v[8:9]
	v_mad_u64_u32 v[8:9], null, s0, v14, 0
	v_add_co_u32 v6, vcc_lo, v0, v6
	v_add_co_ci_u32_e32 v7, vcc_lo, v1, v7, vcc_lo
	global_store_dwordx4 v[6:7], v[2:5], off
	global_load_dwordx4 v[2:5], v169, s[6:7] offset:896
	s_waitcnt vmcnt(0) lgkmcnt(0)
	v_mul_f64 v[6:7], v[12:13], v[4:5]
	v_mul_f64 v[4:5], v[10:11], v[4:5]
	v_fma_f64 v[6:7], v[10:11], v[2:3], v[6:7]
	v_fma_f64 v[4:5], v[2:3], v[12:13], -v[4:5]
	v_mov_b32_e32 v2, v9
	v_mad_u64_u32 v[9:10], null, s1, v14, v[2:3]
	v_mul_f64 v[2:3], v[6:7], s[2:3]
	v_mul_f64 v[4:5], v[4:5], s[2:3]
	v_lshlrev_b64 v[6:7], 4, v[8:9]
	v_add_co_u32 v6, vcc_lo, v0, v6
	v_add_co_ci_u32_e32 v7, vcc_lo, v1, v7, vcc_lo
	global_store_dwordx4 v[6:7], v[2:5], off
	global_load_dwordx4 v[2:5], v169, s[6:7] offset:960
	ds_read_b128 v[6:9], v172 offset:960
	ds_read_b128 v[10:13], v172 offset:1024
	s_waitcnt vmcnt(0) lgkmcnt(1)
	v_mul_f64 v[14:15], v[8:9], v[4:5]
	v_mul_f64 v[4:5], v[6:7], v[4:5]
	v_fma_f64 v[6:7], v[6:7], v[2:3], v[14:15]
	v_fma_f64 v[4:5], v[2:3], v[8:9], -v[4:5]
	v_or_b32_e32 v3, 60, v255
	v_mad_u64_u32 v[8:9], null, s0, v3, 0
	v_mov_b32_e32 v2, v9
	v_mad_u64_u32 v[14:15], null, s1, v3, v[2:3]
	v_mul_f64 v[2:3], v[6:7], s[2:3]
	v_mul_f64 v[4:5], v[4:5], s[2:3]
	v_mov_b32_e32 v9, v14
	v_lshlrev_b64 v[6:7], 4, v[8:9]
	v_add_co_u32 v6, vcc_lo, v0, v6
	v_add_co_ci_u32_e32 v7, vcc_lo, v1, v7, vcc_lo
	global_store_dwordx4 v[6:7], v[2:5], off
	global_load_dwordx4 v[2:5], v169, s[6:7] offset:1024
	s_waitcnt vmcnt(0) lgkmcnt(0)
	v_mul_f64 v[6:7], v[12:13], v[4:5]
	v_mul_f64 v[4:5], v[10:11], v[4:5]
	v_fma_f64 v[6:7], v[10:11], v[2:3], v[6:7]
	v_fma_f64 v[4:5], v[2:3], v[12:13], -v[4:5]
	v_or_b32_e32 v3, 64, v255
	v_mad_u64_u32 v[8:9], null, s0, v3, 0
	v_mov_b32_e32 v2, v9
	v_mad_u64_u32 v[9:10], null, s1, v3, v[2:3]
	v_mul_f64 v[2:3], v[6:7], s[2:3]
	v_mul_f64 v[4:5], v[4:5], s[2:3]
	v_lshlrev_b64 v[6:7], 4, v[8:9]
	v_add_co_u32 v0, vcc_lo, v0, v6
	v_add_co_ci_u32_e32 v1, vcc_lo, v1, v7, vcc_lo
	global_store_dwordx4 v[0:1], v[2:5], off
.LBB0_15:
	s_endpgm
	.section	.rodata,"a",@progbits
	.p2align	6, 0x0
	.amdhsa_kernel bluestein_single_back_len68_dim1_dp_op_CI_CI
		.amdhsa_group_segment_fixed_size 16320
		.amdhsa_private_segment_fixed_size 212
		.amdhsa_kernarg_size 104
		.amdhsa_user_sgpr_count 6
		.amdhsa_user_sgpr_private_segment_buffer 1
		.amdhsa_user_sgpr_dispatch_ptr 0
		.amdhsa_user_sgpr_queue_ptr 0
		.amdhsa_user_sgpr_kernarg_segment_ptr 1
		.amdhsa_user_sgpr_dispatch_id 0
		.amdhsa_user_sgpr_flat_scratch_init 0
		.amdhsa_user_sgpr_private_segment_size 0
		.amdhsa_wavefront_size32 1
		.amdhsa_uses_dynamic_stack 0
		.amdhsa_system_sgpr_private_segment_wavefront_offset 1
		.amdhsa_system_sgpr_workgroup_id_x 1
		.amdhsa_system_sgpr_workgroup_id_y 0
		.amdhsa_system_sgpr_workgroup_id_z 0
		.amdhsa_system_sgpr_workgroup_info 0
		.amdhsa_system_vgpr_workitem_id 0
		.amdhsa_next_free_vgpr 256
		.amdhsa_next_free_sgpr 64
		.amdhsa_reserve_vcc 1
		.amdhsa_reserve_flat_scratch 0
		.amdhsa_float_round_mode_32 0
		.amdhsa_float_round_mode_16_64 0
		.amdhsa_float_denorm_mode_32 3
		.amdhsa_float_denorm_mode_16_64 3
		.amdhsa_dx10_clamp 1
		.amdhsa_ieee_mode 1
		.amdhsa_fp16_overflow 0
		.amdhsa_workgroup_processor_mode 1
		.amdhsa_memory_ordered 1
		.amdhsa_forward_progress 0
		.amdhsa_shared_vgpr_count 0
		.amdhsa_exception_fp_ieee_invalid_op 0
		.amdhsa_exception_fp_denorm_src 0
		.amdhsa_exception_fp_ieee_div_zero 0
		.amdhsa_exception_fp_ieee_overflow 0
		.amdhsa_exception_fp_ieee_underflow 0
		.amdhsa_exception_fp_ieee_inexact 0
		.amdhsa_exception_int_div_zero 0
	.end_amdhsa_kernel
	.text
.Lfunc_end0:
	.size	bluestein_single_back_len68_dim1_dp_op_CI_CI, .Lfunc_end0-bluestein_single_back_len68_dim1_dp_op_CI_CI
                                        ; -- End function
	.section	.AMDGPU.csdata,"",@progbits
; Kernel info:
; codeLenInByte = 20248
; NumSgprs: 66
; NumVgprs: 256
; ScratchSize: 212
; MemoryBound: 0
; FloatMode: 240
; IeeeMode: 1
; LDSByteSize: 16320 bytes/workgroup (compile time only)
; SGPRBlocks: 8
; VGPRBlocks: 31
; NumSGPRsForWavesPerEU: 66
; NumVGPRsForWavesPerEU: 256
; Occupancy: 4
; WaveLimiterHint : 1
; COMPUTE_PGM_RSRC2:SCRATCH_EN: 1
; COMPUTE_PGM_RSRC2:USER_SGPR: 6
; COMPUTE_PGM_RSRC2:TRAP_HANDLER: 0
; COMPUTE_PGM_RSRC2:TGID_X_EN: 1
; COMPUTE_PGM_RSRC2:TGID_Y_EN: 0
; COMPUTE_PGM_RSRC2:TGID_Z_EN: 0
; COMPUTE_PGM_RSRC2:TIDIG_COMP_CNT: 0
	.text
	.p2alignl 6, 3214868480
	.fill 48, 4, 3214868480
	.type	__hip_cuid_6765ca813823bc7c,@object ; @__hip_cuid_6765ca813823bc7c
	.section	.bss,"aw",@nobits
	.globl	__hip_cuid_6765ca813823bc7c
__hip_cuid_6765ca813823bc7c:
	.byte	0                               ; 0x0
	.size	__hip_cuid_6765ca813823bc7c, 1

	.ident	"AMD clang version 19.0.0git (https://github.com/RadeonOpenCompute/llvm-project roc-6.4.0 25133 c7fe45cf4b819c5991fe208aaa96edf142730f1d)"
	.section	".note.GNU-stack","",@progbits
	.addrsig
	.addrsig_sym __hip_cuid_6765ca813823bc7c
	.amdgpu_metadata
---
amdhsa.kernels:
  - .args:
      - .actual_access:  read_only
        .address_space:  global
        .offset:         0
        .size:           8
        .value_kind:     global_buffer
      - .actual_access:  read_only
        .address_space:  global
        .offset:         8
        .size:           8
        .value_kind:     global_buffer
      - .actual_access:  read_only
        .address_space:  global
        .offset:         16
        .size:           8
        .value_kind:     global_buffer
      - .actual_access:  read_only
        .address_space:  global
        .offset:         24
        .size:           8
        .value_kind:     global_buffer
      - .actual_access:  read_only
        .address_space:  global
        .offset:         32
        .size:           8
        .value_kind:     global_buffer
      - .offset:         40
        .size:           8
        .value_kind:     by_value
      - .address_space:  global
        .offset:         48
        .size:           8
        .value_kind:     global_buffer
      - .address_space:  global
        .offset:         56
        .size:           8
        .value_kind:     global_buffer
      - .address_space:  global
        .offset:         64
        .size:           8
        .value_kind:     global_buffer
      - .address_space:  global
        .offset:         72
        .size:           8
        .value_kind:     global_buffer
      - .offset:         80
        .size:           4
        .value_kind:     by_value
      - .address_space:  global
        .offset:         88
        .size:           8
        .value_kind:     global_buffer
      - .address_space:  global
        .offset:         96
        .size:           8
        .value_kind:     global_buffer
    .group_segment_fixed_size: 16320
    .kernarg_segment_align: 8
    .kernarg_segment_size: 104
    .language:       OpenCL C
    .language_version:
      - 2
      - 0
    .max_flat_workgroup_size: 255
    .name:           bluestein_single_back_len68_dim1_dp_op_CI_CI
    .private_segment_fixed_size: 212
    .sgpr_count:     66
    .sgpr_spill_count: 0
    .symbol:         bluestein_single_back_len68_dim1_dp_op_CI_CI.kd
    .uniform_work_group_size: 1
    .uses_dynamic_stack: false
    .vgpr_count:     256
    .vgpr_spill_count: 52
    .wavefront_size: 32
    .workgroup_processor_mode: 1
amdhsa.target:   amdgcn-amd-amdhsa--gfx1030
amdhsa.version:
  - 1
  - 2
...

	.end_amdgpu_metadata
